;; amdgpu-corpus repo=ROCm/Tensile kind=harvested arch=n/a opt=n/a

/******************************************/
/* Function Prefix                        */
/******************************************/



/******************************************/
/* Begin Kernel                           */
/******************************************/

// Component.Signature.SignatureDefault
.amdgcn_target "amdgcn-amd-amdhsa--gfx942"
.text
.protected Cijk_Alik_Bljk_HHS_BH_MT144x192x64_MI16x16x16x1_SN_1LDSB1_APM1_AF0EM1_AF1EM1_AMAS0_ASGT_ASLT_ASEM1_BL1_BS1_CLR0_DTVA0_DTVB0_ETSP_EPS1_ELFLR0_EMLL0_FSSC10_FL2_GLVWA2_GLVWB8_GRCGA1_GRCGB1_GRVWn1_GSU1_GSUASB_GLS0_IU1_K1_LBSPPA128_LBSPPB128_LPA4_LPB8_LRVW4_MIAV0_MKFGSU256_NTA0_NTB0_NTC0_NTD0_NEPBS0_NLCA1_NLCB1_ONLL1_PK0_PGR2_PLR1_PKA0_SIA3_SS1_SU0_SUM0_SUS0_SPO1_SRVW0_SSO0_SVW1_TSGRA0_TSGRB0_TT9_48_TLDS1_UMLDSA1_UMLDSB1_USFGROn1_VAW1_VSn1_VW1_VWB1_VFLRP0_WSGRA0_WSGRB0_WG16_16_1_WGMn32
.globl Cijk_Alik_Bljk_HHS_BH_MT144x192x64_MI16x16x16x1_SN_1LDSB1_APM1_AF0EM1_AF1EM1_AMAS0_ASGT_ASLT_ASEM1_BL1_BS1_CLR0_DTVA0_DTVB0_ETSP_EPS1_ELFLR0_EMLL0_FSSC10_FL2_GLVWA2_GLVWB8_GRCGA1_GRCGB1_GRVWn1_GSU1_GSUASB_GLS0_IU1_K1_LBSPPA128_LBSPPB128_LPA4_LPB8_LRVW4_MIAV0_MKFGSU256_NTA0_NTB0_NTC0_NTD0_NEPBS0_NLCA1_NLCB1_ONLL1_PK0_PGR2_PLR1_PKA0_SIA3_SS1_SU0_SUM0_SUS0_SPO1_SRVW0_SSO0_SVW1_TSGRA0_TSGRB0_TT9_48_TLDS1_UMLDSA1_UMLDSB1_USFGROn1_VAW1_VSn1_VW1_VWB1_VFLRP0_WSGRA0_WSGRB0_WG16_16_1_WGMn32
.p2align 8
.type Cijk_Alik_Bljk_HHS_BH_MT144x192x64_MI16x16x16x1_SN_1LDSB1_APM1_AF0EM1_AF1EM1_AMAS0_ASGT_ASLT_ASEM1_BL1_BS1_CLR0_DTVA0_DTVB0_ETSP_EPS1_ELFLR0_EMLL0_FSSC10_FL2_GLVWA2_GLVWB8_GRCGA1_GRCGB1_GRVWn1_GSU1_GSUASB_GLS0_IU1_K1_LBSPPA128_LBSPPB128_LPA4_LPB8_LRVW4_MIAV0_MKFGSU256_NTA0_NTB0_NTC0_NTD0_NEPBS0_NLCA1_NLCB1_ONLL1_PK0_PGR2_PLR1_PKA0_SIA3_SS1_SU0_SUM0_SUS0_SPO1_SRVW0_SSO0_SVW1_TSGRA0_TSGRB0_TT9_48_TLDS1_UMLDSA1_UMLDSB1_USFGROn1_VAW1_VSn1_VW1_VWB1_VFLRP0_WSGRA0_WSGRB0_WG16_16_1_WGMn32,@function
.section .rodata,#alloc
.p2align 6
.amdhsa_kernel Cijk_Alik_Bljk_HHS_BH_MT144x192x64_MI16x16x16x1_SN_1LDSB1_APM1_AF0EM1_AF1EM1_AMAS0_ASGT_ASLT_ASEM1_BL1_BS1_CLR0_DTVA0_DTVB0_ETSP_EPS1_ELFLR0_EMLL0_FSSC10_FL2_GLVWA2_GLVWB8_GRCGA1_GRCGB1_GRVWn1_GSU1_GSUASB_GLS0_IU1_K1_LBSPPA128_LBSPPB128_LPA4_LPB8_LRVW4_MIAV0_MKFGSU256_NTA0_NTB0_NTC0_NTD0_NEPBS0_NLCA1_NLCB1_ONLL1_PK0_PGR2_PLR1_PKA0_SIA3_SS1_SU0_SUM0_SUS0_SPO1_SRVW0_SSO0_SVW1_TSGRA0_TSGRB0_TT9_48_TLDS1_UMLDSA1_UMLDSB1_USFGROn1_VAW1_VSn1_VW1_VWB1_VFLRP0_WSGRA0_WSGRB0_WG16_16_1_WGMn32
  .amdhsa_user_sgpr_kernarg_segment_ptr 1
  .amdhsa_user_sgpr_kernarg_preload_offset 0
  .amdhsa_user_sgpr_kernarg_preload_length 0
  .amdhsa_user_sgpr_count 2
  .amdhsa_accum_offset 256 // accvgpr offset
  .amdhsa_next_free_vgpr 364 // vgprs
  .amdhsa_next_free_sgpr 80 // sgprs
  .amdhsa_group_segment_fixed_size 47360 // lds bytes
  .amdhsa_private_segment_fixed_size 0
  .amdhsa_system_sgpr_workgroup_id_x 1
  .amdhsa_system_sgpr_workgroup_id_y 1
  .amdhsa_system_sgpr_workgroup_id_z 1
  .amdhsa_system_vgpr_workitem_id 0
  .amdhsa_float_denorm_mode_32 3
  .amdhsa_float_denorm_mode_16_64 3
.end_amdhsa_kernel
.text

/******************************************/
/* Optimizations and Config:              */
/******************************************/
/* ThreadTile= 36 x 3 */
/* SubGroup= 4 x 64 */
/* VectorWidthA=1 */
/* VectorWidthB=1 */
/* GlobalLoadVectorWidthA=2, GlobalLoadVectorWidthB=8 */
/* DirectToLdsA=False */
/* DirectToLdsB=False */
/* UseSgprForGRO=1 */
.amdgpu_metadata
---
amdhsa.version:
  - 1
  - 1
amdhsa.target: amdgcn-amd-amdhsa--gfx942
amdhsa.kernels:
  - .name: Cijk_Alik_Bljk_HHS_BH_MT144x192x64_MI16x16x16x1_SN_1LDSB1_APM1_AF0EM1_AF1EM1_AMAS0_ASGT_ASLT_ASEM1_BL1_BS1_CLR0_DTVA0_DTVB0_ETSP_EPS1_ELFLR0_EMLL0_FSSC10_FL2_GLVWA2_GLVWB8_GRCGA1_GRCGB1_GRVWn1_GSU1_GSUASB_GLS0_IU1_K1_LBSPPA128_LBSPPB128_LPA4_LPB8_LRVW4_MIAV0_MKFGSU256_NTA0_NTB0_NTC0_NTD0_NEPBS0_NLCA1_NLCB1_ONLL1_PK0_PGR2_PLR1_PKA0_SIA3_SS1_SU0_SUM0_SUS0_SPO1_SRVW0_SSO0_SVW1_TSGRA0_TSGRB0_TT9_48_TLDS1_UMLDSA1_UMLDSB1_USFGROn1_VAW1_VSn1_VW1_VWB1_VFLRP0_WSGRA0_WSGRB0_WG16_16_1_WGMn32
    .symbol: 'Cijk_Alik_Bljk_HHS_BH_MT144x192x64_MI16x16x16x1_SN_1LDSB1_APM1_AF0EM1_AF1EM1_AMAS0_ASGT_ASLT_ASEM1_BL1_BS1_CLR0_DTVA0_DTVB0_ETSP_EPS1_ELFLR0_EMLL0_FSSC10_FL2_GLVWA2_GLVWB8_GRCGA1_GRCGB1_GRVWn1_GSU1_GSUASB_GLS0_IU1_K1_LBSPPA128_LBSPPB128_LPA4_LPB8_LRVW4_MIAV0_MKFGSU256_NTA0_NTB0_NTC0_NTD0_NEPBS0_NLCA1_NLCB1_ONLL1_PK0_PGR2_PLR1_PKA0_SIA3_SS1_SU0_SUM0_SUS0_SPO1_SRVW0_SSO0_SVW1_TSGRA0_TSGRB0_TT9_48_TLDS1_UMLDSA1_UMLDSB1_USFGROn1_VAW1_VSn1_VW1_VWB1_VFLRP0_WSGRA0_WSGRB0_WG16_16_1_WGMn32.kd'
    .language:                   OpenCL C
    .language_version:
      - 2
      - 0
    .args:
      - .name:            Tensor2dSizeA
        .size:            8
        .offset:          0
        .value_kind:      by_value
        .value_type:      u64
      - .name:            Tensor2dSizeB
        .size:            8
        .offset:          8
        .value_kind:      by_value
        .value_type:      u64
      - .name:            AddressD
        .size:            8
        .offset:          16
        .value_kind:      by_value
        .value_type:      u64
      - .name:            AddressC
        .size:            8
        .offset:          24
        .value_kind:      by_value
        .value_type:      u64
      - .name:            AddressA
        .size:            8
        .offset:          32
        .value_kind:      by_value
        .value_type:      u64
      - .name:            AddressB
        .size:            8
        .offset:          40
        .value_kind:      by_value
        .value_type:      u64
      - .name:            Alpha
        .size:            4
        .offset:          48
        .value_kind:      by_value
        .value_type:      u32
      - .name:            Beta
        .size:            4
        .offset:          52
        .value_kind:      by_value
        .value_type:      u32
      - .name:            StridesD
        .size:            8
        .offset:          56
        .value_kind:      by_value
        .value_type:      u64
      - .name:            StridesC
        .size:            8
        .offset:          64
        .value_kind:      by_value
        .value_type:      u64
      - .name:            StridesA
        .size:            8
        .offset:          72
        .value_kind:      by_value
        .value_type:      u64
      - .name:            StridesB
        .size:            8
        .offset:          80
        .value_kind:      by_value
        .value_type:      u64
      - .name:            SizesFree
        .size:            12
        .offset:          88
        .value_kind:      by_value
        .value_type:      u96
      - .name:            SizesSum
        .size:            4
        .offset:          100
        .value_kind:      by_value
        .value_type:      u32
      - .name:            NumWorkGroups0
        .size:            4
        .offset:          104
        .value_kind:      by_value
        .value_type:      u32
      - .name:            NumWorkGroups1
        .size:            4
        .offset:          108
        .value_kind:      by_value
        .value_type:      u32
      - .name:            NumFullBlocks
        .size:            4
        .offset:          112
        .value_kind:      by_value
        .value_type:      u32
      - .name:            WgmRemainder1
        .size:            4
        .offset:          116
        .value_kind:      by_value
        .value_type:      u32
      - .name:            MagicNumberWgmRemainder1
        .size:            4
        .offset:          120
        .value_kind:      by_value
        .value_type:      u32
    .group_segment_fixed_size:   47360
    .kernarg_segment_align:      8
    .kernarg_segment_size:       128
    .max_flat_workgroup_size:    256
    .private_segment_fixed_size: 0
    .sgpr_count:                 80
    .sgpr_spill_count:           0
    .vgpr_count:                 256
    .vgpr_spill_count:           0
    .wavefront_size:             64
...
.end_amdgpu_metadata
Cijk_Alik_Bljk_HHS_BH_MT144x192x64_MI16x16x16x1_SN_1LDSB1_APM1_AF0EM1_AF1EM1_AMAS0_ASGT_ASLT_ASEM1_BL1_BS1_CLR0_DTVA0_DTVB0_ETSP_EPS1_ELFLR0_EMLL0_FSSC10_FL2_GLVWA2_GLVWB8_GRCGA1_GRCGB1_GRVWn1_GSU1_GSUASB_GLS0_IU1_K1_LBSPPA128_LBSPPB128_LPA4_LPB8_LRVW4_MIAV0_MKFGSU256_NTA0_NTB0_NTC0_NTD0_NEPBS0_NLCA1_NLCB1_ONLL1_PK0_PGR2_PLR1_PKA0_SIA3_SS1_SU0_SUM0_SUS0_SPO1_SRVW0_SSO0_SVW1_TSGRA0_TSGRB0_TT9_48_TLDS1_UMLDSA1_UMLDSB1_USFGROn1_VAW1_VSn1_VW1_VWB1_VFLRP0_WSGRA0_WSGRB0_WG16_16_1_WGMn32:

/******************************************/
/* Asm syntax workarounds                 */
/******************************************/
.macro _v_add_co_u32 dst:req, cc:req, src0:req, src1:req, dpp=
   v_add_co_u32 \dst, \cc, \src0, \src1 \dpp
.endm

.macro _v_add_u32 dst:req, src0:req, src1:req, dpp=
   v_add_u32 \dst, \src0, \src1 \dpp
.endm

.macro _v_add_i32 dst:req, src0:req, src1:req, dpp=
   v_add_i32 \dst, \src0, \src1 \dpp
.endm

.macro _v_addc_co_u32 dst:req, ccOut:req, src0:req, ccIn:req, src1:req, dpp=
   v_addc_co_u32 \dst, \ccOut, \src0, \ccIn, \src1 \dpp
.endm

.macro _v_sub_co_u32 dst:req, cc:req, src0:req, src1:req, dpp=
   v_sub_co_u32 \dst, \cc, \src0, \src1 \dpp
.endm

.macro _v_sub_u32 dst:req, src0:req, src1:req, dpp=
   v_sub_u32 \dst, \src0, \src1 \dpp
.endm

.macro _v_sub_i32 dst:req, src0:req, src1:req, dpp=
   v_sub_i32 \dst, \src0, \src1 \dpp
.endm

.macro _v_add_lshl_u32 dst:req, src0:req, src1:req, shiftCnt:req
    v_add_lshl_u32 \dst, \src0, \src1, \shiftCnt
.endm

.macro _v_lshl_add_u32 dst:req, src0:req, src1:req, shiftCnt:req
    v_lshl_add_u32 \dst, \src0, \src1, \shiftCnt
.endm

.macro _v_lshl_or_b32 dst:req, src0:req, shiftCnt:req, src1:req
    v_lshl_or_b32 \dst, \src0, \shiftCnt, \src1
.endm

.macro _v_dot2acc_f32_f16 dst, src0, src1
v_dot2c_f32_f16 \dst, \src0, \src1
.endm

.macro _v_cmpx_lt_i16 dst, src0, src1=
   v_cmpx_lt_i16 \dst, \src0, \src1 
.endm

.macro _v_cmpx_lt_i32 dst, src0, src1=
   v_cmpx_lt_i32 \dst, \src0, \src1 
.endm

.macro _v_cmpx_lt_i64 dst, src0, src1=
   v_cmpx_lt_i64 \dst, \src0, \src1 
.endm

.macro _v_cmpx_lt_u16 dst, src0, src1=
   v_cmpx_lt_u16 \dst, \src0, \src1 
.endm

.macro _v_cmpx_lt_u32 dst, src0, src1=
   v_cmpx_lt_u32 \dst, \src0, \src1 
.endm

.macro _v_cmpx_lt_u64 dst, src0, src1=
   v_cmpx_lt_u64 \dst, \src0, \src1 
.endm

.macro _v_cmpx_eq_i16 dst, src0, src1=
   v_cmpx_eq_i16 \dst, \src0, \src1 
.endm

.macro _v_cmpx_eq_i32 dst, src0, src1=
   v_cmpx_eq_i32 \dst, \src0, \src1 
.endm

.macro _v_cmpx_eq_i64 dst, src0, src1=
   v_cmpx_eq_i64 \dst, \src0, \src1 
.endm

.macro _v_cmpx_eq_u16 dst, src0, src1=
   v_cmpx_eq_u16 \dst, \src0, \src1 
.endm

.macro _v_cmpx_eq_u32 dst, src0, src1=
   v_cmpx_eq_u32 \dst, \src0, \src1 
.endm

.macro _v_cmpx_eq_u64 dst, src0, src1=
   v_cmpx_eq_u64 \dst, \src0, \src1 
.endm

.macro _v_cmpx_le_i16 dst, src0, src1=
   v_cmpx_le_i16 \dst, \src0, \src1 
.endm

.macro _v_cmpx_le_i32 dst, src0, src1=
   v_cmpx_le_i32 \dst, \src0, \src1 
.endm

.macro _v_cmpx_le_i64 dst, src0, src1=
   v_cmpx_le_i64 \dst, \src0, \src1 
.endm

.macro _v_cmpx_le_u16 dst, src0, src1=
   v_cmpx_le_u16 \dst, \src0, \src1 
.endm

.macro _v_cmpx_le_u32 dst, src0, src1=
   v_cmpx_le_u32 \dst, \src0, \src1 
.endm

.macro _v_cmpx_le_u64 dst, src0, src1=
   v_cmpx_le_u64 \dst, \src0, \src1 
.endm

.macro _v_cmpx_gt_i16 dst, src0, src1=
   v_cmpx_gt_i16 \dst, \src0, \src1 
.endm

.macro _v_cmpx_gt_i32 dst, src0, src1=
   v_cmpx_gt_i32 \dst, \src0, \src1 
.endm

.macro _v_cmpx_gt_i64 dst, src0, src1=
   v_cmpx_gt_i64 \dst, \src0, \src1 
.endm

.macro _v_cmpx_gt_u16 dst, src0, src1=
   v_cmpx_gt_u16 \dst, \src0, \src1 
.endm

.macro _v_cmpx_gt_u32 dst, src0, src1=
   v_cmpx_gt_u32 \dst, \src0, \src1 
.endm

.macro _v_cmpx_gt_u64 dst, src0, src1=
   v_cmpx_gt_u64 \dst, \src0, \src1 
.endm

.macro _v_cmpx_ne_i16 dst, src0, src1=
   v_cmpx_ne_i16 \dst, \src0, \src1 
.endm

.macro _v_cmpx_ne_i32 dst, src0, src1=
   v_cmpx_ne_i32 \dst, \src0, \src1 
.endm

.macro _v_cmpx_ne_i64 dst, src0, src1=
   v_cmpx_ne_i64 \dst, \src0, \src1 
.endm

.macro _v_cmpx_ne_u16 dst, src0, src1=
   v_cmpx_ne_u16 \dst, \src0, \src1 
.endm

.macro _v_cmpx_ne_u32 dst, src0, src1=
   v_cmpx_ne_u32 \dst, \src0, \src1 
.endm

.macro _v_cmpx_ne_u64 dst, src0, src1=
   v_cmpx_ne_u64 \dst, \src0, \src1 
.endm

.macro _v_cmpx_lg_i16 dst, src0, src1=
   v_cmpx_lg_i16 \dst, \src0, \src1 
.endm

.macro _v_cmpx_lg_i32 dst, src0, src1=
   v_cmpx_lg_i32 \dst, \src0, \src1 
.endm

.macro _v_cmpx_lg_i64 dst, src0, src1=
   v_cmpx_lg_i64 \dst, \src0, \src1 
.endm

.macro _v_cmpx_lg_u16 dst, src0, src1=
   v_cmpx_lg_u16 \dst, \src0, \src1 
.endm

.macro _v_cmpx_lg_u32 dst, src0, src1=
   v_cmpx_lg_u32 \dst, \src0, \src1 
.endm

.macro _v_cmpx_lg_u64 dst, src0, src1=
   v_cmpx_lg_u64 \dst, \src0, \src1 
.endm

.macro _v_cmpx_ge_i16 dst, src0, src1=
   v_cmpx_ge_i16 \dst, \src0, \src1 
.endm

.macro _v_cmpx_ge_i32 dst, src0, src1=
   v_cmpx_ge_i32 \dst, \src0, \src1 
.endm

.macro _v_cmpx_ge_i64 dst, src0, src1=
   v_cmpx_ge_i64 \dst, \src0, \src1 
.endm

.macro _v_cmpx_ge_u16 dst, src0, src1=
   v_cmpx_ge_u16 \dst, \src0, \src1 
.endm

.macro _v_cmpx_ge_u32 dst, src0, src1=
   v_cmpx_ge_u32 \dst, \src0, \src1 
.endm

.macro _v_cmpx_ge_u64 dst, src0, src1=
   v_cmpx_ge_u64 \dst, \src0, \src1 
.endm

.macro _v_cmpx_o_i16 dst, src0, src1=
   v_cmpx_o_i16 \dst, \src0, \src1 
.endm

.macro _v_cmpx_o_i32 dst, src0, src1=
   v_cmpx_o_i32 \dst, \src0, \src1 
.endm

.macro _v_cmpx_o_i64 dst, src0, src1=
   v_cmpx_o_i64 \dst, \src0, \src1 
.endm

.macro _v_cmpx_o_u16 dst, src0, src1=
   v_cmpx_o_u16 \dst, \src0, \src1 
.endm

.macro _v_cmpx_o_u32 dst, src0, src1=
   v_cmpx_o_u32 \dst, \src0, \src1 
.endm

.macro _v_cmpx_o_u64 dst, src0, src1=
   v_cmpx_o_u64 \dst, \src0, \src1 
.endm

.macro _v_cmpx_u_i16 dst, src0, src1=
   v_cmpx_u_i16 \dst, \src0, \src1 
.endm

.macro _v_cmpx_u_i32 dst, src0, src1=
   v_cmpx_u_i32 \dst, \src0, \src1 
.endm

.macro _v_cmpx_u_i64 dst, src0, src1=
   v_cmpx_u_i64 \dst, \src0, \src1 
.endm

.macro _v_cmpx_u_u16 dst, src0, src1=
   v_cmpx_u_u16 \dst, \src0, \src1 
.endm

.macro _v_cmpx_u_u32 dst, src0, src1=
   v_cmpx_u_u32 \dst, \src0, \src1 
.endm

.macro _v_cmpx_u_u64 dst, src0, src1=
   v_cmpx_u_u64 \dst, \src0, \src1 
.endm
.macro _v_mac_f32 c:req, a:req, b:req
    v_fmac_f32 \c, \a, \b
.endmacro

/* scale global load macros */
.macro _s_load_b32 dst base offset
    s_load_dword \dst \base \offset
.endm

.macro _s_load_b64 dst base offset
    s_load_dwordx2 \dst \base \offset
.endm

.macro _s_load_b128 dst base offset
    s_load_dwordx4 \dst \base \offset
.endm

.macro _s_load_b256 dst base offset
    s_load_dwordx8 \dst \base \offset
.endm

.macro _s_load_b512 dst base offset
    s_load_dwordx16 \dst \base \offset
.endm


/* ds operation macros */
.macro _ds_load_u8 dst src offset
    ds_read_u8 \dst \src \offset
.endm

.macro _ds_load_u8_d16_hi dst src offset
    ds_read_u8_d16_hi \dst \src \offset
.endm

.macro _ds_load_u16 dst src offset
    ds_read_u16 \dst \src \offset
.endm

.macro _ds_load_u16_d16_hi dst src offset
    ds_read_u16_d16_hi \dst \src \offset
.endm

.macro _ds_load_b32 dst src offset
    ds_read_b32 \dst \src \offset
.endm

.macro _ds_load_b64 dst src offset
    ds_read_b64 \dst \src \offset
.endm

.macro _ds_load_b128 dst src offset
    ds_read_b128 \dst \src \offset
.endm

.macro _ds_store_b8 dst src offset
    ds_write_b8 \dst \src \offset
.endm

.macro _ds_store_b8_d16_hi dst src offset
    ds_write_b8_d16_hi \dst \src \offset
.endm

.macro _ds_store_b16 dst src offset
    ds_write_b16 \dst \src \offset
.endm

.macro _ds_store_b16_d16_hi dst src offset
    ds_write_b16_d16_hi \dst \src \offset
.endm

.macro _ds_store_b32 dst src offset
    ds_write_b32 \dst \src \offset
.endm

.macro _ds_store_b64 dst src offset
    ds_write_b64 \dst \src \offset
.endm

.macro _ds_store_b128 dst src offset
    ds_write_b128 \dst \src \offset
.endm

.macro _ds_load2_b32 dst src offset1 offset2
    ds_read2_b32 \dst \src \offset1 \offset2
.endm

.macro _ds_load2_b64 dst src offset1 offset2
    ds_read2_b64 \dst \src \offset1 \offset2
.endm

.macro _ds_store2_b32 dst src offset1 offset2
    ds_write2_b32 \dst \src \offset1 \offset2
.endm

.macro _ds_store2_b64 dst src offset1 offset2
    ds_write2_b64 \dst \src \offset1 \offset2
.endm


/* buffer memory operation macros */
.macro _buffer_load_b32 dst voffset base soffset offen ioffset md0 md1 md2
    buffer_load_dword \dst \voffset \base \soffset \offen \ioffset \md0 \md1 \md2
.endm

.macro _buffer_load_b64 dst voffset base soffset offen ioffset md0 md1 md2
    buffer_load_dwordx2 \dst \voffset \base \soffset \offen \ioffset \md0 \md1 \md2
.endm

.macro _buffer_load_b96 dst voffset base soffset offen ioffset md0 md1 md2
    buffer_load_dwordx3 \dst \voffset \base \soffset \offen \ioffset \md0 \md1 \md2
.endm

.macro _buffer_load_b128 dst voffset base soffset offen ioffset md0 md1 md2
    buffer_load_dwordx4 \dst \voffset \base \soffset \offen \ioffset \md0 \md1 \md2
.endm

.macro _buffer_load_d16_b16 dst voffset base soffset offen ioffset md0 md1 md2
    buffer_load_short_d16 \dst \voffset \base \soffset \offen \ioffset \md0 \md1 \md2
.endm

.macro _buffer_load_d16_hi_b16 dst voffset base soffset offen ioffset md0 md1 md2
    buffer_load_short_d16_hi \dst \voffset \base \soffset \offen \ioffset \md0 \md1 \md2
.endm

.macro _buffer_load_d16_u8 dst voffset base soffset offen ioffset md0 md1 md2
    buffer_load_ubyte_d16 \dst \voffset \base \soffset \offen \ioffset \md0 \md1 \md2
.endm

.macro _buffer_load_d16_hi_u8 dst voffset base soffset offen ioffset md0 md1 md2
    buffer_load_ubyte_d16_hi \dst \voffset \base \soffset \offen \ioffset \md0 \md1 \md2
.endm

.macro _buffer_load_u16 dst voffset base soffset offen ioffset md0 md1 md2
    buffer_load_ushort \dst \voffset \base \soffset \offen \ioffset \md0 \md1 \md2
.endm

.macro _buffer_load_b32_dtl voffset base soffset offen ioffset md0 md1 md2
    buffer_load_dword \voffset \base \soffset \offen \ioffset \md0 \md1 \md2
.endm

.macro _buffer_load_b64_dtl voffset base soffset offen ioffset md0 md1 md2
    buffer_load_dwordx2 \voffset \base \soffset \offen \ioffset \md0 \md1 \md2
.endm

.macro _buffer_load_b128_dtl voffset base soffset offen ioffset md0 md1 md2
    buffer_load_dwordx4 \voffset \base \soffset \offen \ioffset \md0 \md1 \md2
.endm

.macro _buffer_load_u16_dtl voffset base soffset offen ioffset md0 md1 md2
    buffer_load_ushort \voffset \base \soffset \offen \ioffset \md0 \md1 \md2
.endm

.macro _buffer_store_b32 src voffset base soffset offen ioffset md0 md1 md2
    buffer_store_dword \src \voffset \base \soffset \offen \ioffset \md0 \md1 \md2
.endm

.macro _buffer_store_b64 src voffset base soffset offen ioffset md0 md1 md2
    buffer_store_dwordx2 \src \voffset \base \soffset \offen \ioffset \md0 \md1 \md2
.endm

.macro _buffer_store_b96 src voffset base soffset offen ioffset md0 md1 md2
    buffer_store_dwordx3 \src \voffset \base \soffset \offen \ioffset \md0 \md1 \md2
.endm

.macro _buffer_store_b128 src voffset base soffset offen ioffset md0 md1 md2
    buffer_store_dwordx4 \src \voffset \base \soffset \offen \ioffset \md0 \md1 \md2
.endm

.macro _buffer_store_b16 src voffset base soffset offen ioffset md0 md1 md2
    buffer_store_short \src \voffset \base \soffset \offen \ioffset \md0 \md1 \md2
.endm

.macro _buffer_store_d16_hi_b16 src voffset base soffset offen ioffset md0 md1 md2
    buffer_store_short_d16_hi \src \voffset \base \soffset \offen \ioffset \md0 \md1 \md2
.endm

.macro _buffer_store_b8 src voffset base soffset offen ioffset md0 md1 md2
    buffer_store_byte \src \voffset \base \soffset \offen \ioffset \md0 \md1 \md2
.endm

.macro _buffer_store_d16_hi_b8 src voffset base soffset offen ioffset md0 md1 md2
    buffer_store_byte_d16_hi \src \voffset \base \soffset \offen \ioffset \md0 \md1 \md2
.endm

.macro _buffer_atomic_cmpswap_b32 dst voffset base soffset offen ioffset md0 md1 md2
    buffer_atomic_cmpswap \dst \voffset \base \soffset \offen \ioffset \md0 \md1 \md2
.endm

.macro _buffer_atomic_cmpswap_b64 dst voffset base soffset offen ioffset md0 md1 md2
    buffer_atomic_cmpswap_x2 \dst \voffset \base \soffset \offen \ioffset \md0 \md1 \md2
.endm


/* buffer memory operation macros */
.macro _global_load_b32 dst base src ioffset md0 md1 md2
    global_load_dword \dst \base \src \ioffset \md0 \md1 \md2
.endm

.macro _global_load_b64 dst base src ioffset md0 md1 md2
    global_load_dwordx2 \dst \base \src \ioffset \md0 \md1 \md2
.endm

.macro _global_load_b96 dst base src ioffset md0 md1 md2
    global_load_dwordx3 \dst \base \src \ioffset \md0 \md1 \md2
.endm

.macro _global_load_b128 dst base src ioffset md0 md1 md2
    global_load_dwordx4 \dst \base \src \ioffset \md0 \md1 \md2
.endm

.macro _global_load_d16_b16 dst base src ioffset md0 md1 md2
    global_load_short_d16 \dst \base \src \ioffset \md0 \md1 \md2
.endm

.macro _global_load_d16_hi_b16 dst base src ioffset md0 md1 md2
    global_load_short_d16_hi \dst \base \src \ioffset \md0 \md1 \md2
.endm

.macro _global_load_d16_u8 dst base src ioffset md0 md1 md2
    global_load_ubyte_d16 \dst \base \src \ioffset \md0 \md1 \md2
.endm

.macro _global_load_d16_hi_u8 dst base src ioffset md0 md1 md2
    global_load_ubyte_d16_hi \dst \base \src \ioffset \md0 \md1 \md2
.endm

.macro _global_load_u16 dst base src ioffset md0 md1 md2
    global_load_ushort \dst \base \src \ioffset \md0 \md1 \md2
.endm

.macro _global_store_b32 base src src2 md0 md1 md2
    global_store_dword \base \src \src2 \md0 \md1 \md2
.endm

.macro _global_store_b64 base src src2 md0 md1 md2
    global_store_dwordx2 \base \src \src2 \md0 \md1 \md2
.endm

.macro _global_store_b96 base src src2 md0 md1 md2
    global_store_dwordx3 \base \src \src2 \md0 \md1 \md2
.endm

.macro _global_store_b128 base src src2 md0 md1 md2
    global_store_dwordx4 \base \src \src2 \md0 \md1 \md2
.endm

.macro _global_store_d16_b16 base src src2 md0 md1 md2
    global_store_short \base \src \src2 \md0 \md1 \md2
.endm

.macro _global_store_d16_hi_b16 base src src2 md0 md1 md2
    global_store_short_d16_hi \base \src \src2 \md0 \md1 \md2
.endm

.macro _global_store_d16_u8 base src src2 md0 md1 md2
    global_store_ubyte_d16 \base \src \src2 \md0 \md1 \md2
.endm

.macro _global_store_d16_hi_u8 base src src2 md0 md1 md2
    global_store_ubyte_d16_hi \base \src \src2 \md0 \md1 \md2
.endm

.macro _global_store_u16 base src src2 md0 md1 md2
    global_store_ushort \base \src \src2 \md0 \md1 \md2
.endm

.macro _global_atomic_cmpswap_b32 tmp base data src ioffset md
    global_atomic_cmpswap \tmp \base \data \src \ioffset \md
.endm

.macro _global_atomic_cmpswap_b64 tmp base data src ioffset md
    global_atomic_cmpswap_x2 \tmp \base \data \src \ioffset \md
.endm


/******************************************/
/* Magic div and mod functions            */
/******************************************/
.macro V_MAGIC_DIV dstIdx:req, dividend:req, magicNumber:req, magicShift:req, magicA:req
    v_mul_hi_u32 v[\dstIdx+1], \dividend, \magicNumber
    v_mul_lo_u32 v[\dstIdx+0], \dividend, \magicA
    _v_add_u32 v[\dstIdx+0], v[\dstIdx+0], v[\dstIdx+1]
    v_lshrrev_b32 v[\dstIdx+0], \magicShift, v[\dstIdx+0]
.endm

/******************************************/
/* VGPR Assignments                       */
/******************************************/
/* ValuC range: [0-0), serializedStore enabled */
.set vgprValuC, 0
/* ValuA/B   Xn=PLR buffer idx,  In=InnerUnroll idx */
.set vgprValuA_X0_I0, 0
.set vgprValuA_X1_I0, 18
.set vgprG2LA, 52
.set vgprValuB_X0_I0, 36
.set vgprValuB_X1_I0, 42
.set vgprG2LB, 70
.set vgprLocalWriteAddrA, 48
.set vgprLocalWriteAddrB, 49
.set vgprGlobalReadOffsetA, 50
.set vgprGlobalReadOffsetB, 51
.set vgprLocalReadAddrA, 94
.set vgprLocalReadAddrB, 95
.set vgprSerial, 96
/* Num VGPR=256 */
/* Num AccVGPR=108 */

/******************************************/
/* SGPR Assignments                       */
/******************************************/
.set sgprKernArgAddress, 0 // (2)
.set sgprWorkGroup0, 2 // (1)
.set sgprWorkGroup1, 3 // (1)
.set sgprWorkGroup2, 4 // (1)
.set sgprLoopCounterL, 5 // (1)
.set sgprOrigLoopCounter, 6 // (1)
.set sgprSrdA, 8 // (4)
.set sgprSrdB, 12 // (4)
.set sgprSrdD, 16 // (4)
.set sgprSrdC, 20 // (4)
.set sgprTensor2dSizeA, 24 // (2)
.set sgprTensor2dSizeB, 26 // (2)
.set sgprAddressD, 28 // (2)
.set sgprAddressC, 30 // (2)
.set sgprAddressA, 32 // (2)
.set sgprAddressB, 34 // (2)
.set sgprAlpha, 36 // (1)
.set sgprBeta, 37 // (1)
.set sgprStridesD, 38 // (2)
.set sgprStridesC, 40 // (2)
.set sgprStridesA, 42 // (2)
.set sgprStridesB, 44 // (2)
.set sgprSizesFree, 46 // (3)
.set sgprSizesSum, 49 // (1)
.set sgprNumWorkGroups0, 50 // (1)
.set sgprNumWorkGroups1, 51 // (1)
.set sgprNumFullBlocks, 52 // (1)
.set sgprWgmRemainder1, 53 // (1)
.set sgprMagicNumberWgmRemainder1, 54 // (1)
.set sgprShadowLimitA, 0 // (2)
.set sgprShadowLimitB, 28 // (2)
.set sgprGlobalReadIncsA, 7 // (1)
.set sgprGlobalReadIncsB, 30 // (1)
.set sgprScalarGlobalReadOffsetA, 58 // (17)
.set sgprScalarGlobalReadOffsetB, 31 // (5)
/* max SGPR=80 */

/* Size Assignments */
.set sgprSizeI, sgprSizesFree+0
.set sgprSizeJ, sgprSizesFree+1
.set sgprSizeK, sgprSizesFree+2
.set sgprSizeL, sgprSizesSum+0

/* Stride Assignments */
.set constStrideD0I, 1
.set sgprStrideD1J, sgprStridesD+0
.set sgprStrideDK, sgprStridesD+1
.set constStrideC0I, 1
.set sgprStrideC1J, sgprStridesC+0
.set sgprStrideCK, sgprStridesC+1
.set constStrideAL, 1
.set sgprStrideA0I, sgprStridesA+0
.set sgprStrideAK, sgprStridesA+1
.set constStrideBL, 1
.set sgprStrideB1J, sgprStridesB+0
.set sgprStrideBK, sgprStridesB+1

.set MT0, 144
.set MT1, 192
.set DepthU, 64
.set GSU, 1
.set BpeA, 2
.set BpeALog2, 1
.set BpeB, 2
.set BpeBLog2, 1
/* Number of elements to shift-left SRD */
.set SrdShiftLeftA, 2
.set SrdShiftLeftB, 8
/* 2GB limit - set offsets to -1 to exceed this and clamp */
.set BufferLimitA, 0xffffffff
.set BufferLimitB, 0xffffffff
.set BufferOOB, 0xfffff000

/******************************************/
/* Bits 127:96 of SRD.                    */
/* hex: 0x00020000                        */
/* dst_sel_x (3b): 0                      */
/* dst_sel_y (3b): 0                      */
/* dst_sel_z (3b): 0                      */
/* dst_sel_w (3b): 0                      */
/* num_format (3b): 0                     */
/* data_format (4b): 4                    */
/* user_vm_enable (1b): 0                 */
/* user_vm_mode (1b): 0                   */
/* index_stride (2b): 0                   */
/* add_tid_enable (1b): 0                 */
/* _unusedA (3b): 0                       */
/* nv (1b): 0                             */
/* _unusedB (2b): 0                       */
/* type (2b): 0                           */
/******************************************/
.set Srd127_96, 0x00020000

/* Global Offset A */
.macro GLOBAL_OFFSET_A vgprAddr:req vgprOffsetL:req vgprOffset0I:req vgprTmp:req
v_mul_lo_u32 v[\vgprTmp+0], s[sgprStrideA0I], v[\vgprOffset0I] // mul d1 lower
_v_add_co_u32 v[\vgprAddr+0], vcc, v[\vgprOffsetL], v[\vgprTmp+0] // accumulate K lower
_v_add_u32 v[\vgprAddr+0], 0x2, v[\vgprAddr+0]     // add prepad for pointer shift
v_lshlrev_b32 v[\vgprAddr+0], 0x1, v[\vgprAddr+0]  // offset *= bytes/element
.endm

/* Global Offset B */
.macro GLOBAL_OFFSET_B vgprAddr:req vgprOffsetL:req vgprOffset1J:req vgprTmp:req
v_mul_lo_u32 v[\vgprTmp+0], s[sgprStrideB1J], v[\vgprOffset1J] // mul d1 lower
_v_add_co_u32 v[\vgprAddr+0], vcc, v[\vgprOffsetL], v[\vgprTmp+0] // accumulate K lower
_v_add_u32 v[\vgprAddr+0], 0x8, v[\vgprAddr+0]     // add prepad for pointer shift
v_lshlrev_b32 v[\vgprAddr+0], 0x1, v[\vgprAddr+0]  // offset *= bytes/element
.endm

/******************************************/
/* Dynamic Scalar Divide: vQuotient=vDividend/vDivisor; vRemainder=vDividend%vDivisor; */
/******************************************/
.macro DYNAMIC_VECTOR_DIVIDE vQuotient vRemainder vDividend vDivisor vTmp0 vTmp1 sTmp
v_cvt_f32_u32 v[\vQuotient], v[\vDivisor]          // 
v_rcp_f32 v[\vQuotient], v[\vQuotient]             // 
v_mul_f32 v[\vQuotient], 0x4f800000, v[\vQuotient] // 
v_cvt_u32_f32 v[\vQuotient], v[\vQuotient]         // 
v_mul_lo_u32 v[\vRemainder], v[\vDivisor], v[\vQuotient] // 
v_mul_hi_u32 v[\vTmp0], v[\vDivisor], v[\vQuotient] // 
_v_sub_co_u32 v[\vTmp1], vcc, 0x0, v[\vRemainder]  // 
v_cmp_ne_i32 s[\sTmp:\sTmp+1], 0x0, v[\vTmp0]      // 
v_cndmask_b32 v[\vRemainder], v[\vTmp1], v[\vRemainder], s[\sTmp:\sTmp+1] // 
v_mul_hi_u32 v[\vRemainder], v[\vRemainder], v[\vQuotient] // 
_v_sub_co_u32 v[\vTmp0], vcc, v[\vQuotient], v[\vRemainder] // 
_v_add_co_u32 v[\vQuotient], vcc, v[\vQuotient], v[\vRemainder] // 
v_cndmask_b32 v[\vQuotient], v[\vQuotient], v[\vTmp0], s[\sTmp:\sTmp+1] // 
v_mul_hi_u32 v[\vQuotient], v[\vQuotient], v[\vDividend] // 
v_mul_lo_u32 v[\vRemainder], v[\vQuotient], v[\vDivisor] // 
_v_sub_co_u32 v[\vTmp0], vcc, v[\vDividend], v[\vRemainder] // 
v_cmp_ge_u32 s[\sTmp:\sTmp+1], v[\vDividend], v[\vRemainder] // 
_v_add_co_u32 v[\vRemainder], vcc, 0x1, v[\vQuotient] // 
_v_add_co_u32 v[\vTmp1], vcc, -1, v[\vQuotient]    // 
v_cmp_le_u32 vcc, v[\vDivisor], v[\vTmp0]          // 
s_and_b64 vcc, s[\sTmp:\sTmp+1], vcc               // 
v_cndmask_b32 v[\vQuotient], v[\vQuotient], v[\vRemainder], vcc // 
v_cndmask_b32 v[\vQuotient], v[\vTmp1], v[\vQuotient], s[\sTmp:\sTmp+1] // 
v_cmp_ne_i32 vcc, 0x0, v[\vDivisor]                // 
v_cndmask_b32 v[\vQuotient], -1, v[\vQuotient], vcc // final result
v_mul_lo_u32 v[\vRemainder], v[\vQuotient], v[\vDivisor] // 
_v_sub_co_u32 v[\vRemainder], vcc, v[\vDividend], v[\vRemainder] // final result
.endm



/******************************************/
/* Allocate Resources                     */
/******************************************/

Cijk_Alik_Bljk_HHS_BH_MT144x192x64_MI16x16x16x1_SN_1LDSB1_APM1_AF0EM1_AF1EM1_AMAS0_ASGT_ASLT_ASEM1_BL1_BS1_CLR0_DTVA0_DTVB0_ETSP_EPS1_ELFLR0_EMLL0_FSSC10_FL2_GLVWA2_GLVWB8_GRCGA1_GRCGB1_GRVWn1_GSU1_GSUASB_GLS0_IU1_K1_LBSPPA128_LBSPPB128_LPA4_LPB8_LRVW4_MIAV0_MKFGSU256_NTA0_NTB0_NTC0_NTD0_NEPBS0_NLCA1_NLCB1_ONLL1_PK0_PGR2_PLR1_PKA0_SIA3_SS1_SU0_SUM0_SUS0_SPO1_SRVW0_SSO0_SVW1_TSGRA0_TSGRB0_TT9_48_TLDS1_UMLDSA1_UMLDSB1_USFGROn1_VAW1_VSn1_VW1_VWB1_VFLRP0_WSGRA0_WSGRB0_WG16_16_1_WGMn32_preloaded: // Kernel start when preloading
s_setprio 3                                        // optimization store

/* Load Kernel Args */
_s_load_b512 s[24:39], s[sgprKernArgAddress:sgprKernArgAddress+1], 0x0 // 
_s_load_b256 s[40:47], s[sgprKernArgAddress:sgprKernArgAddress+1], 0x40 // 
_s_load_b128 s[48:51], s[sgprKernArgAddress:sgprKernArgAddress+1], 0x60 // 
_s_load_b64 s[52:53], s[sgprKernArgAddress:sgprKernArgAddress+1], 0x70 // 
_s_load_b32 s54, s[sgprKernArgAddress:sgprKernArgAddress+1], 0x78 // 
s_mov_b32 m0, 0xb900                               // LDS clamp at 47360 bytes
v_mov_b32 v[vgprSerial], v0                        // thread serial id

/******************************************/
/* Local Read Addresses                   */
/******************************************/


/* local read addresses: tile assignments a/b */

/*lr0I*/
v_and_b32 v1, 63, v[vgprSerial]                    // 0. thread id in wave: wtid = tid % wavelength(64)
v_and_b32 v0, 15, v1                               // 1. N offset: nIdx = wtid % MI_N(16)
v_lshlrev_b32 v0, 0x6, v0                          // 1. N offset: nOffset = nIdx * nStride(64)
                                                   // 2. block offset: bnIdx = bnIdx % num1DBlocks(1) is 0. do nothing
                                                   // 4. apply VectorWidth: bnOffset = bnOffset * vw(1) (multiplier is 1, do nothing)
v_lshrrev_b32 v1, 4, v1                            // 5. K offset: kIdx = wtid / (MIN(16) * MIBB(1))
v_lshlrev_b32 v1, 0x2, v1                          // 5. K offset: lrKOffset = kIdx * mStride(4)
_v_add_u32 v0, v1, v0                              // 6. offset in wave: lrOffset = bnOffset + lrKOffset
/*lr1J*/
v_and_b32 v2, 63, v[vgprSerial]                    // 0. thread id in wave: wtid = tid % wavelength(64)
v_and_b32 v1, 15, v2                               // 1. N offset: nIdx = wtid % MI_N(16)
v_lshlrev_b32 v1, 0x6, v1                          // 1. N offset: nOffset = nIdx * nStride(64)
                                                   // 2. block offset: bnIdx = bnIdx % num1DBlocks(1) is 0. do nothing
                                                   // 4. apply VectorWidth: bnOffset = bnOffset * vw(1) (multiplier is 1, do nothing)
v_lshrrev_b32 v2, 4, v2                            // 5. K offset: kIdx = wtid / (MIN(16) * MIBB(1))
v_lshlrev_b32 v2, 0x2, v2                          // 5. K offset: lrKOffset = kIdx * mStride(4)
_v_add_u32 v1, v2, v1                              // 6. offset in wave: lrOffset = bnOffset + lrKOffset
v_lshrrev_b32 v3, 6, v[vgprSerial]                 // 7. wave offset in N dimen: wtid = tid / dividedForWaveId(64)
v_and_b32 v2, 3, v3                                // 7. wave offset in M dimen: wtid0 = wtid / num1DWaves(4)
v_lshlrev_b32 v2, 0xa, v2                          // 7. wave offset in M dimen: wOffset = wtid0 * W0Stride(1024)
_v_add_u32 v1, v2, v1                              // 8. final local read offset: flrOffset = lrOffset + WOffset


/* local read addresses: final offsets a */

v_lshlrev_b32 v[vgprLocalReadAddrA], 0x1, v0       // Final Offset: offset = (lro0)*bpe
v_lshrrev_b32 v0, 7, v[vgprLocalReadAddrA]         // Final Offset: padding 4 per block 128
v_lshlrev_b32 v0, 0x3, v0                          // Final Offset: padding 4 per block 128
_v_add_u32 v[vgprLocalReadAddrA], v0, v[vgprLocalReadAddrA] // Final Offset: add padding 4 per block 128


/* local read addresses: final offsets b */

v_lshlrev_b32 v[vgprLocalReadAddrB], 0x1, v1       // Final Offset: offset = (lro1)*bpe
v_lshrrev_b32 v0, 7, v[vgprLocalReadAddrB]         // Final Offset: padding 8 per block 128
v_lshlrev_b32 v0, 0x4, v0                          // Final Offset: padding 8 per block 128
_v_add_u32 v[vgprLocalReadAddrB], v0, v[vgprLocalReadAddrB] // Final Offset: add padding 8 per block 128


/* local read addresses: declare addresses a */

/* N/A */


/* local read addresses: declare addresses b */

_v_add_co_u32 v[vgprLocalReadAddrB+0], vcc, 0x4d00, v[vgprLocalReadAddrB+0] //  += LdsOffsetB (lower)


/* global read addresses: tile offset assignment a */

/* LVCA = 32 */
/* v0 = (local)groA-tile = serial/LVCA (note (wgA*MTA) will be added to SRD) */
/* v1 = groA-unroll = serial%LVCA */
v_lshrrev_b32 v0, 5, v[vgprSerial]                 // v0 = v[vgprSerial] / 32
v_and_b32 v1, 31, v[vgprSerial]                    // v1 = v[vgprSerial] % 32
/* gro-unroll *= glvw */
v_lshlrev_b32 v1, 0x1, v1                          // v1 = v1 * 2


/* global read addresses: tile offset assignment b */

/* LVCB = 8 */
/* v2 = (local)groB-tile = serial/LVCB (note (wgB*MTB) will be added to SRD) */
/* v3 = groB-unroll = serial%LVCB */
v_lshrrev_b32 v2, 3, v[vgprSerial]                 // v2 = v[vgprSerial] / 8
v_and_b32 v3, 7, v[vgprSerial]                     // v3 = v[vgprSerial] % 8
/* gro-unroll *= glvw */
v_lshlrev_b32 v3, 0x3, v3                          // v3 = v3 * 8


/******************************************/
/* Local Write Addresses                  */
/******************************************/

/* lwaTileAssignmentA = v0 */

/* lwaTileAssignmentB = v2 */

/* lwaUnrollAssignmentA = v1 */

/* lwaUnrollAssignmentB = v3 */


/* local write addresses: first offset a */

v_mul_u32_u24 v[vgprLocalWriteAddrA], 0x40, v0     // lwAL**(DepthU_Compute + PAD)
_v_add_lshl_u32 v[vgprLocalWriteAddrA], v1, v[vgprLocalWriteAddrA], 0x1 // lwFOA = (lwAA + lwAL*(DepthU+PAD))*bpe
v_lshrrev_b32 v4, 7, v[vgprLocalWriteAddrA]        // padding 4 per block 128
v_lshlrev_b32 v4, 0x3, v4                          // padding 4 per block 128
_v_add_u32 v[vgprLocalWriteAddrA], v4, v[vgprLocalWriteAddrA] // add padding 4 per block 128


/* local write addresses: first offset b */

v_mul_u32_u24 v[vgprLocalWriteAddrB], 0x40, v2     // lwBL**(DepthU_Compute + PAD)
_v_add_lshl_u32 v[vgprLocalWriteAddrB], v3, v[vgprLocalWriteAddrB], 0x1 // lwFOB = (lwBB + lwBL*(DepthU+PAD))*bpe
v_lshrrev_b32 v4, 7, v[vgprLocalWriteAddrB]        // padding 8 per block 128
v_lshlrev_b32 v4, 0x4, v4                          // padding 8 per block 128
_v_add_u32 v[vgprLocalWriteAddrB], v4, v[vgprLocalWriteAddrB] // add padding 8 per block 128
_v_add_co_u32 v[vgprLocalWriteAddrB], vcc, 0x4d00, v[vgprLocalWriteAddrB] // lwFOB = lwB1J + lwBL*MT1J + LDS_OFFSET_B=9856*2


	;; [unrolled: 1-line block ×7, first 2 shown]
s_waitcnt lgkmcnt(0)                               // wait for 124 bytes of kern args
s_mov_b64 s[sgprSrdC+0:sgprSrdC+0+1], s[sgprAddressC+0:sgprAddressC+0+1] // copy addressC
s_mov_b64 s[sgprSrdD+0:sgprSrdD+0+1], s[sgprAddressD+0:sgprAddressD+0+1] // copy addressD
s_sub_u32 s[sgprSrdA+0], s[sgprAddressA+0], 4      // pre-pad to make room for possible pointer shift
s_subb_u32 s[sgprSrdA+1], s[sgprAddressA+1], 0     // pre-pad to make room for possible pointer shift
s_sub_u32 s[sgprSrdB+0], s[sgprAddressB+0], 16     // pre-pad to make room for possible pointer shift
s_subb_u32 s[sgprSrdB+1], s[sgprAddressB+1], 0     // pre-pad to make room for possible pointer shift

.set AddressD, UNDEF
.set AddressC, UNDEF
.set AddressA, UNDEF
.set AddressB, UNDEF

/* Short circuit condition if Alpha == 0, then sumDims=0 */
v_cmp_eq_f32 vcc, s[sgprAlpha], 0.0                // Alpha == 0.0f ?
s_cbranch_vccz label_AlphaNonZero                  // branch if alpha != 0
s_mov_b32 s[sgprSizesSum+0], 0x0                   // Set summation dim=0 if Alpha == 0
label_AlphaNonZero:


	;; [unrolled: 1-line block ×3, first 2 shown]
/******************************************/
/* Begin setupNewTile, isPap=False           */
/******************************************/


/* global read addresses: work-group */

/* graWorkGroup mapping */


/* global read addresses: unroll assignment a */

/* v1 */


/* global read addresses: unroll assignment b */

/* v3 */


/* global read addresses: other free assignments */

/* s[sgprWorkGroup2] */


/* global read addresses: tile offsets a */


	;; [unrolled: 1-line block ×3, first 2 shown]
/* global read addresses: tile offsets b */



/* global read addresses: unroll offsets a */


	;; [unrolled: 1-line block ×3, first 2 shown]
/* global read addresses: unroll offsets b */


	;; [unrolled: 1-line block ×3, first 2 shown]
/* global read addresses: final offsets a */

GLOBAL_OFFSET_A vgprGlobalReadOffsetA+0,  1,  0, 4 // gROA_0_0_0_0
s_mul_i32 s[sgprScalarGlobalReadOffsetA+0], s[sgprStrideA0I], 8 // compute offset diff (scaled tileDim)
s_lshl_b32 s[sgprScalarGlobalReadOffsetA+0], s[sgprScalarGlobalReadOffsetA+0], 0x1 // scalar offset *= bytes/element
s_mul_i32 s[sgprScalarGlobalReadOffsetA+1], s[sgprStrideA0I], 16 // compute offset diff (scaled tileDim)
s_lshl_b32 s[sgprScalarGlobalReadOffsetA+1], s[sgprScalarGlobalReadOffsetA+1], 0x1 // scalar offset *= bytes/element
	;; [unrolled: 2-line block ×17, first 2 shown]


/* global read addresses: final offsets b */

GLOBAL_OFFSET_B vgprGlobalReadOffsetB+0,  3,  2, 4 // gROB_0_0_0_0
s_mul_i32 s[sgprScalarGlobalReadOffsetB+0], s[sgprStrideB1J], 32 // compute offset diff (scaled tileDim)
s_lshl_b32 s[sgprScalarGlobalReadOffsetB+0], s[sgprScalarGlobalReadOffsetB+0], 0x1 // scalar offset *= bytes/element
s_mul_i32 s[sgprScalarGlobalReadOffsetB+1], s[sgprStrideB1J], 64 // compute offset diff (scaled tileDim)
s_lshl_b32 s[sgprScalarGlobalReadOffsetB+1], s[sgprScalarGlobalReadOffsetB+1], 0x1 // scalar offset *= bytes/element
	;; [unrolled: 2-line block ×5, first 2 shown]


/* global read addresses: addresses a */

/* max read offset = size[n] * stride[n-1] */
s_mul_hi_u32 s79, s[sgprWorkGroup0], 144           // WorkGroup[01] * MT
s_mul_i32 s78, s[sgprWorkGroup0], 144              // WorkGroup[01] * MT
s_mul_hi_u32 s79, s78, s[sgprStrideA0I]            // tlu=0, scaled tile-offset by stride
s_mul_i32 s78, s78, s[sgprStrideA0I]               // tlu=0, scaled tile-offset by stride
s_sub_u32 s[sgprShadowLimitA+0], s[sgprTensor2dSizeA], s78 // sub tileStart
s_subb_u32 s[sgprShadowLimitA+1], s[sgprTensor2dSizeA+1], s79 // sub tileStart
s_lshl_b64 s[sgprShadowLimitA:sgprShadowLimitA+1], s[sgprShadowLimitA:sgprShadowLimitA+1], 0x1 // Set limit to use bytes
s_add_u32 s[sgprShadowLimitA+0], s[sgprShadowLimitA+0], 4 // extend limit for pre-pad
s_addc_u32 s[sgprShadowLimitA+1], s[sgprShadowLimitA+1], 0 // extend limit for pre-pad
s_cmp_eq_u32 s[sgprShadowLimitA+1], 0              // are we within 2^32?
s_cselect_b32 s[sgprSrdA+2], s[sgprShadowLimitA+0], BufferLimitA // Move shadow to real if we are within 2^32
s_mul_hi_u32 s77, s[sgprStrideAK], s[sgprWorkGroup2] // Stride*WG
s_mul_i32 s76, s[sgprStrideAK], s[sgprWorkGroup2]  // Stride*WG
s_add_u32 s78, s78, s76                            // accum wg term to tilestart
s_addc_u32 s79, s79, s77                           // accum wg term to tilestart
s_lshl_b64 s[78:79], s[78:79], 0x1                 // tileStart *= BPE
s_add_u32 s[sgprSrdA+0], s[sgprSrdA+0], s78        // SRD base = Address+ tileStart0
s_addc_u32 s[sgprSrdA+1], s[sgprSrdA+1], s79       // SRD base = Address+ tileStart1
s_mov_b32 s[sgprSrdA+3], Srd127_96                 // Set bits 127_96 in SRD


/* global read addresses: addresses b */

/* max read offset = size[n] * stride[n-1] */
s_mul_hi_u32 s79, s[sgprWorkGroup1], 192           // WorkGroup[01] * MT
s_mul_i32 s78, s[sgprWorkGroup1], 192              // WorkGroup[01] * MT
s_mul_hi_u32 s79, s78, s[sgprStrideB1J]            // tlu=0, scaled tile-offset by stride
s_mul_i32 s78, s78, s[sgprStrideB1J]               // tlu=0, scaled tile-offset by stride
s_sub_u32 s[sgprShadowLimitB+0], s[sgprTensor2dSizeB], s78 // sub tileStart
s_subb_u32 s[sgprShadowLimitB+1], s[sgprTensor2dSizeB+1], s79 // sub tileStart
s_lshl_b64 s[sgprShadowLimitB:sgprShadowLimitB+1], s[sgprShadowLimitB:sgprShadowLimitB+1], 0x1 // Set limit to use bytes
s_add_u32 s[sgprShadowLimitB+0], s[sgprShadowLimitB+0], 16 // extend limit for pre-pad
s_addc_u32 s[sgprShadowLimitB+1], s[sgprShadowLimitB+1], 0 // extend limit for pre-pad
s_cmp_eq_u32 s[sgprShadowLimitB+1], 0              // are we within 2^32?
s_cselect_b32 s[sgprSrdB+2], s[sgprShadowLimitB+0], BufferLimitB // Move shadow to real if we are within 2^32
s_mul_hi_u32 s77, s[sgprStrideBK], s[sgprWorkGroup2] // Stride*WG
s_mul_i32 s76, s[sgprStrideBK], s[sgprWorkGroup2]  // Stride*WG
s_add_u32 s78, s78, s76                            // accum wg term to tilestart
s_addc_u32 s79, s79, s77                           // accum wg term to tilestart
s_lshl_b64 s[78:79], s[78:79], 0x1                 // tileStart *= BPE
s_add_u32 s[sgprSrdB+0], s[sgprSrdB+0], s78        // SRD base = Address+ tileStart0
s_addc_u32 s[sgprSrdB+1], s[sgprSrdB+1], s79       // SRD base = Address+ tileStart1
s_mov_b32 s[sgprSrdB+3], Srd127_96                 // Set bits 127_96 in SRD


/* global read addresses: increments a */

s_mov_b32 s[sgprGlobalReadIncsA+0], DepthU*BpeA    // incrA (unrollIdx)


/* global read addresses: increments b */

s_mov_b32 s[sgprGlobalReadIncsB+0], DepthU*BpeB    // incrB (unrollIdx)

/* declare loop num iterations */


s_lshr_b32 s[sgprLoopCounterL], s[sgprSizesSum+0], 6 // s[sgprLoopCounterL] = s[sgprSizesSum+0] / 64
s_mov_b32 s[sgprOrigLoopCounter], s[sgprLoopCounterL] // copy loop counter

/* local read addresses: init pointers a */


/* localReadInitPointers */

/* local read addresses: init pointers b */


/* localReadInitPointers */


/* prefetch: global -> local */

s_cmp_eq_u32 s[sgprLoopCounterL], 0                // at last iteration?
s_setprio 0                                        // optimization store
s_cbranch_scc1 ShadowInitStart_10                  // skip to ShadowInitStart iter b/c numIter==0


_buffer_load_b32 v[vgprG2LA+0], v[vgprGlobalReadOffsetA+0], s[sgprSrdA:sgprSrdA+3], 0, offen offset:0 // G -> Reg 0_0_0_0
_buffer_load_b32 v[vgprG2LA+1], v[vgprGlobalReadOffsetA+0], s[sgprSrdA:sgprSrdA+3], s[sgprScalarGlobalReadOffsetA+0], offen offset:0 // G -> Reg 0_0_1_0
_buffer_load_b32 v[vgprG2LA+2], v[vgprGlobalReadOffsetA+0], s[sgprSrdA:sgprSrdA+3], s[sgprScalarGlobalReadOffsetA+1], offen offset:0 // G -> Reg 0_0_2_0
_buffer_load_b32 v[vgprG2LA+3], v[vgprGlobalReadOffsetA+0], s[sgprSrdA:sgprSrdA+3], s[sgprScalarGlobalReadOffsetA+2], offen offset:0 // G -> Reg 0_0_3_0
_buffer_load_b32 v[vgprG2LA+4], v[vgprGlobalReadOffsetA+0], s[sgprSrdA:sgprSrdA+3], s[sgprScalarGlobalReadOffsetA+3], offen offset:0 // G -> Reg 0_0_4_0
_buffer_load_b32 v[vgprG2LA+5], v[vgprGlobalReadOffsetA+0], s[sgprSrdA:sgprSrdA+3], s[sgprScalarGlobalReadOffsetA+4], offen offset:0 // G -> Reg 0_0_5_0
_buffer_load_b32 v[vgprG2LA+6], v[vgprGlobalReadOffsetA+0], s[sgprSrdA:sgprSrdA+3], s[sgprScalarGlobalReadOffsetA+5], offen offset:0 // G -> Reg 0_0_6_0
_buffer_load_b32 v[vgprG2LA+7], v[vgprGlobalReadOffsetA+0], s[sgprSrdA:sgprSrdA+3], s[sgprScalarGlobalReadOffsetA+6], offen offset:0 // G -> Reg 0_0_7_0
_buffer_load_b32 v[vgprG2LA+8], v[vgprGlobalReadOffsetA+0], s[sgprSrdA:sgprSrdA+3], s[sgprScalarGlobalReadOffsetA+7], offen offset:0 // G -> Reg 0_0_8_0
_buffer_load_b32 v[vgprG2LA+9], v[vgprGlobalReadOffsetA+0], s[sgprSrdA:sgprSrdA+3], s[sgprScalarGlobalReadOffsetA+8], offen offset:0 // G -> Reg 0_0_9_0
_buffer_load_b32 v[vgprG2LA+10], v[vgprGlobalReadOffsetA+0], s[sgprSrdA:sgprSrdA+3], s[sgprScalarGlobalReadOffsetA+9], offen offset:0 // G -> Reg 0_0_10_0
_buffer_load_b32 v[vgprG2LA+11], v[vgprGlobalReadOffsetA+0], s[sgprSrdA:sgprSrdA+3], s[sgprScalarGlobalReadOffsetA+10], offen offset:0 // G -> Reg 0_0_11_0
_buffer_load_b32 v[vgprG2LA+12], v[vgprGlobalReadOffsetA+0], s[sgprSrdA:sgprSrdA+3], s[sgprScalarGlobalReadOffsetA+11], offen offset:0 // G -> Reg 0_0_12_0
_buffer_load_b32 v[vgprG2LA+13], v[vgprGlobalReadOffsetA+0], s[sgprSrdA:sgprSrdA+3], s[sgprScalarGlobalReadOffsetA+12], offen offset:0 // G -> Reg 0_0_13_0
_buffer_load_b32 v[vgprG2LA+14], v[vgprGlobalReadOffsetA+0], s[sgprSrdA:sgprSrdA+3], s[sgprScalarGlobalReadOffsetA+13], offen offset:0 // G -> Reg 0_0_14_0
_buffer_load_b32 v[vgprG2LA+15], v[vgprGlobalReadOffsetA+0], s[sgprSrdA:sgprSrdA+3], s[sgprScalarGlobalReadOffsetA+14], offen offset:0 // G -> Reg 0_0_15_0
_buffer_load_b32 v[vgprG2LA+16], v[vgprGlobalReadOffsetA+0], s[sgprSrdA:sgprSrdA+3], s[sgprScalarGlobalReadOffsetA+15], offen offset:0 // G -> Reg 0_0_16_0
_buffer_load_b32 v[vgprG2LA+17], v[vgprGlobalReadOffsetA+0], s[sgprSrdA:sgprSrdA+3], s[sgprScalarGlobalReadOffsetA+16], offen offset:0 // G -> Reg 0_0_17_0


_buffer_load_b128 v[vgprG2LB+0:vgprG2LB+0+3], v[vgprGlobalReadOffsetB+0], s[sgprSrdB:sgprSrdB+3], 0, offen offset:0 // G -> Reg 0_0_0_0
_buffer_load_b128 v[vgprG2LB+4:vgprG2LB+4+3], v[vgprGlobalReadOffsetB+0], s[sgprSrdB:sgprSrdB+3], s[sgprScalarGlobalReadOffsetB+0], offen offset:0 // G -> Reg 0_0_1_0
_buffer_load_b128 v[vgprG2LB+8:vgprG2LB+8+3], v[vgprGlobalReadOffsetB+0], s[sgprSrdB:sgprSrdB+3], s[sgprScalarGlobalReadOffsetB+1], offen offset:0 // G -> Reg 0_0_2_0
_buffer_load_b128 v[vgprG2LB+12:vgprG2LB+12+3], v[vgprGlobalReadOffsetB+0], s[sgprSrdB:sgprSrdB+3], s[sgprScalarGlobalReadOffsetB+2], offen offset:0 // G -> Reg 0_0_3_0
_buffer_load_b128 v[vgprG2LB+16:vgprG2LB+16+3], v[vgprGlobalReadOffsetB+0], s[sgprSrdB:sgprSrdB+3], s[sgprScalarGlobalReadOffsetB+3], offen offset:0 // G -> Reg 0_0_4_0
_buffer_load_b128 v[vgprG2LB+20:vgprG2LB+20+3], v[vgprGlobalReadOffsetB+0], s[sgprSrdB:sgprSrdB+3], s[sgprScalarGlobalReadOffsetB+4], offen offset:0 // G -> Reg 0_0_5_0


/* global read inc A loopL */
s_add_u32 s[sgprSrdA+0], s[sgprSrdA+0], s[sgprGlobalReadIncsA+0] // gra SRD += inc(lower)
s_addc_u32  s[sgprSrdA+1], s[sgprSrdA+1], 0        // gra SRD += inc(upper)
s_sub_u32 s[sgprShadowLimitA+0], s[sgprShadowLimitA+0], s[sgprGlobalReadIncsA+0] // limit -= inc)
s_subb_u32 s[sgprShadowLimitA+1], s[sgprShadowLimitA+1], 0 // limit -= inc)
s_cmp_eq_u32 s[sgprShadowLimitA+1], 0              // are we within 2^32?
s_cmov_b32 s[sgprSrdA+2], s[sgprShadowLimitA+0]    // Move shadow to real if we are within 2^32

/* global read inc B loopL */
s_add_u32 s[sgprSrdB+0], s[sgprSrdB+0], s[sgprGlobalReadIncsB+0] // gra SRD += inc(lower)
s_addc_u32  s[sgprSrdB+1], s[sgprSrdB+1], 0        // gra SRD += inc(upper)
s_sub_u32 s[sgprShadowLimitB+0], s[sgprShadowLimitB+0], s[sgprGlobalReadIncsB+0] // limit -= inc)
s_subb_u32 s[sgprShadowLimitB+1], s[sgprShadowLimitB+1], 0 // limit -= inc)
s_cmp_eq_u32 s[sgprShadowLimitB+1], 0              // are we within 2^32?
s_cmov_b32 s[sgprSrdB+2], s[sgprShadowLimitB+0]    // Move shadow to real if we are within 2^32


/******************************************/
/* End setupNewTile, isPap=False             */
/******************************************/

ShadowInitStart_10: // 

s_mov_b32 s[sgprSrdD+2], BufferOOB                 // 
s_mov_b32 s[sgprSrdD+3], Srd127_96                 // Set bits 127_96 in post-loop SRD

s_mov_b32 s[sgprSrdC+2], BufferOOB                 // 
s_mov_b32 s[sgprSrdC+3], Srd127_96                 // Set bits 127_96 in post-loop SRD


s_mul_i32 s78, MT1, s[sgprWorkGroup1]              // <- wg1*MT1
s_mul_hi_u32 s77, s78, s[sgprStrideC1J]            // CScale s78 by Stride
s_mul_i32 s76, s78, s[sgprStrideC1J]               // CScale s78 by Stride
s_lshl_b64 s[76:77], s[76:77], 1                   // scale by bpe
s_add_u32 s[sgprSrdC+0], s[sgprSrdC+0], s76        // add lo to SRD
s_addc_u32 s[sgprSrdC+1], s[sgprSrdC+1], s77       // add hi to SRD
s_mul_hi_u32 s77, s78, s[sgprStrideD1J]            // Scale s78 by Stride
s_mul_i32 s76, s78, s[sgprStrideD1J]               // Scale s78 by Stride
s_lshl_b64 s[76:77], s[76:77], 1                   // scale by bpe
s_add_u32 s[sgprSrdD+0], s[sgprSrdD+0], s76        // add lo to SRD
s_addc_u32 s[sgprSrdD+1], s[sgprSrdD+1], s77       // add hi to SRD

s_mul_hi_u32 s77, s[sgprWorkGroup2], s[sgprStrideCK] // CScale s[sgprWorkGroup2] by Stride
s_mul_i32 s76, s[sgprWorkGroup2], s[sgprStrideCK]  // CScale s[sgprWorkGroup2] by Stride
s_lshl_b64 s[76:77], s[76:77], 1                   // scale by bpe
s_add_u32 s[sgprSrdC+0], s[sgprSrdC+0], s76        // add lo to SRD
s_addc_u32 s[sgprSrdC+1], s[sgprSrdC+1], s77       // add hi to SRD
s_mul_hi_u32 s77, s[sgprWorkGroup2], s[sgprStrideDK] // Scale s[sgprWorkGroup2] by Stride
s_mul_i32 s76, s[sgprWorkGroup2], s[sgprStrideDK]  // Scale s[sgprWorkGroup2] by Stride
s_lshl_b64 s[76:77], s[76:77], 1                   // scale by bpe
s_add_u32 s[sgprSrdD+0], s[sgprSrdD+0], s76        // add lo to SRD
s_addc_u32 s[sgprSrdD+1], s[sgprSrdD+1], s77       // add hi to SRD


	;; [unrolled: 1-line block ×3, first 2 shown]
/* initC: remove C-tile 0-0 from pool */

/* initC: remove AB-tile 0-48 from pool */
v_accvgpr_write acc0, 0x0                          // initC
v_accvgpr_write acc1, 0x0                          // initC
v_accvgpr_write acc2, 0x0                          // initC
v_accvgpr_write acc3, 0x0                          // initC
v_accvgpr_write acc4, 0x0                          // initC
v_accvgpr_write acc5, 0x0                          // initC
v_accvgpr_write acc6, 0x0                          // initC
v_accvgpr_write acc7, 0x0                          // initC
v_accvgpr_write acc8, 0x0                          // initC
v_accvgpr_write acc9, 0x0                          // initC
v_accvgpr_write acc10, 0x0                         // initC
v_accvgpr_write acc11, 0x0                         // initC
v_accvgpr_write acc12, 0x0                         // initC
v_accvgpr_write acc13, 0x0                         // initC
v_accvgpr_write acc14, 0x0                         // initC
v_accvgpr_write acc15, 0x0                         // initC
v_accvgpr_write acc16, 0x0                         // initC
v_accvgpr_write acc17, 0x0                         // initC
v_accvgpr_write acc18, 0x0                         // initC
v_accvgpr_write acc19, 0x0                         // initC
v_accvgpr_write acc20, 0x0                         // initC
v_accvgpr_write acc21, 0x0                         // initC
v_accvgpr_write acc22, 0x0                         // initC
v_accvgpr_write acc23, 0x0                         // initC
v_accvgpr_write acc24, 0x0                         // initC
v_accvgpr_write acc25, 0x0                         // initC
v_accvgpr_write acc26, 0x0                         // initC
v_accvgpr_write acc27, 0x0                         // initC
v_accvgpr_write acc28, 0x0                         // initC
v_accvgpr_write acc29, 0x0                         // initC
v_accvgpr_write acc30, 0x0                         // initC
v_accvgpr_write acc31, 0x0                         // initC
v_accvgpr_write acc32, 0x0                         // initC
v_accvgpr_write acc33, 0x0                         // initC
v_accvgpr_write acc34, 0x0                         // initC
v_accvgpr_write acc35, 0x0                         // initC
v_accvgpr_write acc36, 0x0                         // initC
v_accvgpr_write acc37, 0x0                         // initC
v_accvgpr_write acc38, 0x0                         // initC
v_accvgpr_write acc39, 0x0                         // initC
v_accvgpr_write acc40, 0x0                         // initC
v_accvgpr_write acc41, 0x0                         // initC
v_accvgpr_write acc42, 0x0                         // initC
v_accvgpr_write acc43, 0x0                         // initC
v_accvgpr_write acc44, 0x0                         // initC
v_accvgpr_write acc45, 0x0                         // initC
v_accvgpr_write acc46, 0x0                         // initC
v_accvgpr_write acc47, 0x0                         // initC
v_accvgpr_write acc48, 0x0                         // initC
v_accvgpr_write acc49, 0x0                         // initC
v_accvgpr_write acc50, 0x0                         // initC
v_accvgpr_write acc51, 0x0                         // initC
v_accvgpr_write acc52, 0x0                         // initC
v_accvgpr_write acc53, 0x0                         // initC
v_accvgpr_write acc54, 0x0                         // initC
v_accvgpr_write acc55, 0x0                         // initC
v_accvgpr_write acc56, 0x0                         // initC
v_accvgpr_write acc57, 0x0                         // initC
v_accvgpr_write acc58, 0x0                         // initC
v_accvgpr_write acc59, 0x0                         // initC
v_accvgpr_write acc60, 0x0                         // initC
v_accvgpr_write acc61, 0x0                         // initC
v_accvgpr_write acc62, 0x0                         // initC
v_accvgpr_write acc63, 0x0                         // initC
v_accvgpr_write acc64, 0x0                         // initC
v_accvgpr_write acc65, 0x0                         // initC
v_accvgpr_write acc66, 0x0                         // initC
v_accvgpr_write acc67, 0x0                         // initC
v_accvgpr_write acc68, 0x0                         // initC
v_accvgpr_write acc69, 0x0                         // initC
v_accvgpr_write acc70, 0x0                         // initC
v_accvgpr_write acc71, 0x0                         // initC
v_accvgpr_write acc72, 0x0                         // initC
v_accvgpr_write acc73, 0x0                         // initC
v_accvgpr_write acc74, 0x0                         // initC
v_accvgpr_write acc75, 0x0                         // initC
v_accvgpr_write acc76, 0x0                         // initC
v_accvgpr_write acc77, 0x0                         // initC
v_accvgpr_write acc78, 0x0                         // initC
v_accvgpr_write acc79, 0x0                         // initC
v_accvgpr_write acc80, 0x0                         // initC
v_accvgpr_write acc81, 0x0                         // initC
v_accvgpr_write acc82, 0x0                         // initC
v_accvgpr_write acc83, 0x0                         // initC
v_accvgpr_write acc84, 0x0                         // initC
v_accvgpr_write acc85, 0x0                         // initC
v_accvgpr_write acc86, 0x0                         // initC
v_accvgpr_write acc87, 0x0                         // initC
v_accvgpr_write acc88, 0x0                         // initC
v_accvgpr_write acc89, 0x0                         // initC
v_accvgpr_write acc90, 0x0                         // initC
v_accvgpr_write acc91, 0x0                         // initC
v_accvgpr_write acc92, 0x0                         // initC
v_accvgpr_write acc93, 0x0                         // initC
v_accvgpr_write acc94, 0x0                         // initC
v_accvgpr_write acc95, 0x0                         // initC
v_accvgpr_write acc96, 0x0                         // initC
v_accvgpr_write acc97, 0x0                         // initC
v_accvgpr_write acc98, 0x0                         // initC
v_accvgpr_write acc99, 0x0                         // initC
v_accvgpr_write acc100, 0x0                        // initC
v_accvgpr_write acc101, 0x0                        // initC
v_accvgpr_write acc102, 0x0                        // initC
v_accvgpr_write acc103, 0x0                        // initC
v_accvgpr_write acc104, 0x0                        // initC
v_accvgpr_write acc105, 0x0                        // initC
v_accvgpr_write acc106, 0x0                        // initC
v_accvgpr_write acc107, 0x0                        // initC

s_cmp_eq_u32 s[sgprLoopCounterL], 0                // at last iteration?

/* after InitC, skip to end of prefetch last iter if numIter==0 */
s_cbranch_scc0 label_NoBranch_11                   // Only branch on scc1
s_getpc_B64 s[76:77]                               // addr of next instr
s_add_i32 s78, PrefetchGlobalLastIterEnd_5, 0x4    // target branch offset
s_add_u32 s76, s76, s78                            // add target branch offset
s_addc_u32 s77, s77, 0                             // add high and carry
s_setpc_b64 s[76:77]                               // branch to PrefetchGlobalLastIterEnd_5
label_NoBranch_11:

s_waitcnt vmcnt(0)                                 // lgkmcnt=-1 vmcnt=0 8wait for global read


/* local write a */
_ds_store_b32 v[vgprLocalWriteAddrA], v[vgprG2LA+0] offset:0 // lwoA_0_0_0_0 = (0*LSCA)*(MT0I+PAD) + (0*LSPA) = 0
_ds_store_b32 v[vgprLocalWriteAddrA], v[vgprG2LA+1] offset:1088 // lwoA_0_0_1_0 = (0*LSCA)*(MT0I+PAD) + (1*LSPA) = 1088
_ds_store_b32 v[vgprLocalWriteAddrA], v[vgprG2LA+2] offset:2176 // lwoA_0_0_2_0 = (0*LSCA)*(MT0I+PAD) + (2*LSPA) = 2176
_ds_store_b32 v[vgprLocalWriteAddrA], v[vgprG2LA+3] offset:3264 // lwoA_0_0_3_0 = (0*LSCA)*(MT0I+PAD) + (3*LSPA) = 3264
_ds_store_b32 v[vgprLocalWriteAddrA], v[vgprG2LA+4] offset:4352 // lwoA_0_0_4_0 = (0*LSCA)*(MT0I+PAD) + (4*LSPA) = 4352
_ds_store_b32 v[vgprLocalWriteAddrA], v[vgprG2LA+5] offset:5440 // lwoA_0_0_5_0 = (0*LSCA)*(MT0I+PAD) + (5*LSPA) = 5440
_ds_store_b32 v[vgprLocalWriteAddrA], v[vgprG2LA+6] offset:6528 // lwoA_0_0_6_0 = (0*LSCA)*(MT0I+PAD) + (6*LSPA) = 6528
_ds_store_b32 v[vgprLocalWriteAddrA], v[vgprG2LA+7] offset:7616 // lwoA_0_0_7_0 = (0*LSCA)*(MT0I+PAD) + (7*LSPA) = 7616
_ds_store_b32 v[vgprLocalWriteAddrA], v[vgprG2LA+8] offset:8704 // lwoA_0_0_8_0 = (0*LSCA)*(MT0I+PAD) + (8*LSPA) = 8704
_ds_store_b32 v[vgprLocalWriteAddrA], v[vgprG2LA+9] offset:9792 // lwoA_0_0_9_0 = (0*LSCA)*(MT0I+PAD) + (9*LSPA) = 9792
_ds_store_b32 v[vgprLocalWriteAddrA], v[vgprG2LA+10] offset:10880 // lwoA_0_0_10_0 = (0*LSCA)*(MT0I+PAD) + (10*LSPA) = 10880
_ds_store_b32 v[vgprLocalWriteAddrA], v[vgprG2LA+11] offset:11968 // lwoA_0_0_11_0 = (0*LSCA)*(MT0I+PAD) + (11*LSPA) = 11968
_ds_store_b32 v[vgprLocalWriteAddrA], v[vgprG2LA+12] offset:13056 // lwoA_0_0_12_0 = (0*LSCA)*(MT0I+PAD) + (12*LSPA) = 13056
_ds_store_b32 v[vgprLocalWriteAddrA], v[vgprG2LA+13] offset:14144 // lwoA_0_0_13_0 = (0*LSCA)*(MT0I+PAD) + (13*LSPA) = 14144
_ds_store_b32 v[vgprLocalWriteAddrA], v[vgprG2LA+14] offset:15232 // lwoA_0_0_14_0 = (0*LSCA)*(MT0I+PAD) + (14*LSPA) = 15232
_ds_store_b32 v[vgprLocalWriteAddrA], v[vgprG2LA+15] offset:16320 // lwoA_0_0_15_0 = (0*LSCA)*(MT0I+PAD) + (15*LSPA) = 16320
_ds_store_b32 v[vgprLocalWriteAddrA], v[vgprG2LA+16] offset:17408 // lwoA_0_0_16_0 = (0*LSCA)*(MT0I+PAD) + (16*LSPA) = 17408
_ds_store_b32 v[vgprLocalWriteAddrA], v[vgprG2LA+17] offset:18496 // lwoA_0_0_17_0 = (0*LSCA)*(MT0I+PAD) + (17*LSPA) = 18496

/* local write b */
_ds_store_b128 v[vgprLocalWriteAddrB], v[vgprG2LB+0:vgprG2LB+0+3] offset:0 // lwoB_0_0_0_0 = (0*LSCB)*(MT1J+PAD) + (0*LSPB) = 0
_ds_store_b128 v[vgprLocalWriteAddrB], v[vgprG2LB+4:vgprG2LB+4+3] offset:4608 // lwoB_0_0_1_0 = (0*LSCB)*(MT1J+PAD) + (1*LSPB) = 4608
_ds_store_b128 v[vgprLocalWriteAddrB], v[vgprG2LB+8:vgprG2LB+8+3] offset:9216 // lwoB_0_0_2_0 = (0*LSCB)*(MT1J+PAD) + (2*LSPB) = 9216
_ds_store_b128 v[vgprLocalWriteAddrB], v[vgprG2LB+12:vgprG2LB+12+3] offset:13824 // lwoB_0_0_3_0 = (0*LSCB)*(MT1J+PAD) + (3*LSPB) = 13824
_ds_store_b128 v[vgprLocalWriteAddrB], v[vgprG2LB+16:vgprG2LB+16+3] offset:18432 // lwoB_0_0_4_0 = (0*LSCB)*(MT1J+PAD) + (4*LSPB) = 18432
_ds_store_b128 v[vgprLocalWriteAddrB], v[vgprG2LB+20:vgprG2LB+20+3] offset:23040 // lwoB_0_0_5_0 = (0*LSCB)*(MT1J+PAD) + (5*LSPB) = 23040


/* local write swap a */


	;; [unrolled: 1-line block ×3, first 2 shown]
/* local write swap b */


	;; [unrolled: 1-line block ×4, first 2 shown]
s_cmp_eq_u32 s[sgprLoopCounterL] 0x1               // PGR=2 but only 1 loop
s_cbranch_scc1 label_0012                          // PGR=2 but only 1 loop


_buffer_load_b32 v[vgprG2LA+0], v[vgprGlobalReadOffsetA+0], s[sgprSrdA:sgprSrdA+3], 0, offen offset:0 // G -> Reg 0_0_0_0
_buffer_load_b32 v[vgprG2LA+1], v[vgprGlobalReadOffsetA+0], s[sgprSrdA:sgprSrdA+3], s[sgprScalarGlobalReadOffsetA+0], offen offset:0 // G -> Reg 0_0_1_0
_buffer_load_b32 v[vgprG2LA+2], v[vgprGlobalReadOffsetA+0], s[sgprSrdA:sgprSrdA+3], s[sgprScalarGlobalReadOffsetA+1], offen offset:0 // G -> Reg 0_0_2_0
_buffer_load_b32 v[vgprG2LA+3], v[vgprGlobalReadOffsetA+0], s[sgprSrdA:sgprSrdA+3], s[sgprScalarGlobalReadOffsetA+2], offen offset:0 // G -> Reg 0_0_3_0
_buffer_load_b32 v[vgprG2LA+4], v[vgprGlobalReadOffsetA+0], s[sgprSrdA:sgprSrdA+3], s[sgprScalarGlobalReadOffsetA+3], offen offset:0 // G -> Reg 0_0_4_0
_buffer_load_b32 v[vgprG2LA+5], v[vgprGlobalReadOffsetA+0], s[sgprSrdA:sgprSrdA+3], s[sgprScalarGlobalReadOffsetA+4], offen offset:0 // G -> Reg 0_0_5_0
_buffer_load_b32 v[vgprG2LA+6], v[vgprGlobalReadOffsetA+0], s[sgprSrdA:sgprSrdA+3], s[sgprScalarGlobalReadOffsetA+5], offen offset:0 // G -> Reg 0_0_6_0
_buffer_load_b32 v[vgprG2LA+7], v[vgprGlobalReadOffsetA+0], s[sgprSrdA:sgprSrdA+3], s[sgprScalarGlobalReadOffsetA+6], offen offset:0 // G -> Reg 0_0_7_0
_buffer_load_b32 v[vgprG2LA+8], v[vgprGlobalReadOffsetA+0], s[sgprSrdA:sgprSrdA+3], s[sgprScalarGlobalReadOffsetA+7], offen offset:0 // G -> Reg 0_0_8_0
_buffer_load_b32 v[vgprG2LA+9], v[vgprGlobalReadOffsetA+0], s[sgprSrdA:sgprSrdA+3], s[sgprScalarGlobalReadOffsetA+8], offen offset:0 // G -> Reg 0_0_9_0
_buffer_load_b32 v[vgprG2LA+10], v[vgprGlobalReadOffsetA+0], s[sgprSrdA:sgprSrdA+3], s[sgprScalarGlobalReadOffsetA+9], offen offset:0 // G -> Reg 0_0_10_0
_buffer_load_b32 v[vgprG2LA+11], v[vgprGlobalReadOffsetA+0], s[sgprSrdA:sgprSrdA+3], s[sgprScalarGlobalReadOffsetA+10], offen offset:0 // G -> Reg 0_0_11_0
_buffer_load_b32 v[vgprG2LA+12], v[vgprGlobalReadOffsetA+0], s[sgprSrdA:sgprSrdA+3], s[sgprScalarGlobalReadOffsetA+11], offen offset:0 // G -> Reg 0_0_12_0
_buffer_load_b32 v[vgprG2LA+13], v[vgprGlobalReadOffsetA+0], s[sgprSrdA:sgprSrdA+3], s[sgprScalarGlobalReadOffsetA+12], offen offset:0 // G -> Reg 0_0_13_0
_buffer_load_b32 v[vgprG2LA+14], v[vgprGlobalReadOffsetA+0], s[sgprSrdA:sgprSrdA+3], s[sgprScalarGlobalReadOffsetA+13], offen offset:0 // G -> Reg 0_0_14_0
_buffer_load_b32 v[vgprG2LA+15], v[vgprGlobalReadOffsetA+0], s[sgprSrdA:sgprSrdA+3], s[sgprScalarGlobalReadOffsetA+14], offen offset:0 // G -> Reg 0_0_15_0
_buffer_load_b32 v[vgprG2LA+16], v[vgprGlobalReadOffsetA+0], s[sgprSrdA:sgprSrdA+3], s[sgprScalarGlobalReadOffsetA+15], offen offset:0 // G -> Reg 0_0_16_0
_buffer_load_b32 v[vgprG2LA+17], v[vgprGlobalReadOffsetA+0], s[sgprSrdA:sgprSrdA+3], s[sgprScalarGlobalReadOffsetA+16], offen offset:0 // G -> Reg 0_0_17_0


_buffer_load_b128 v[vgprG2LB+0:vgprG2LB+0+3], v[vgprGlobalReadOffsetB+0], s[sgprSrdB:sgprSrdB+3], 0, offen offset:0 // G -> Reg 0_0_0_0
_buffer_load_b128 v[vgprG2LB+4:vgprG2LB+4+3], v[vgprGlobalReadOffsetB+0], s[sgprSrdB:sgprSrdB+3], s[sgprScalarGlobalReadOffsetB+0], offen offset:0 // G -> Reg 0_0_1_0
_buffer_load_b128 v[vgprG2LB+8:vgprG2LB+8+3], v[vgprGlobalReadOffsetB+0], s[sgprSrdB:sgprSrdB+3], s[sgprScalarGlobalReadOffsetB+1], offen offset:0 // G -> Reg 0_0_2_0
_buffer_load_b128 v[vgprG2LB+12:vgprG2LB+12+3], v[vgprGlobalReadOffsetB+0], s[sgprSrdB:sgprSrdB+3], s[sgprScalarGlobalReadOffsetB+2], offen offset:0 // G -> Reg 0_0_3_0
_buffer_load_b128 v[vgprG2LB+16:vgprG2LB+16+3], v[vgprGlobalReadOffsetB+0], s[sgprSrdB:sgprSrdB+3], s[sgprScalarGlobalReadOffsetB+3], offen offset:0 // G -> Reg 0_0_4_0
_buffer_load_b128 v[vgprG2LB+20:vgprG2LB+20+3], v[vgprGlobalReadOffsetB+0], s[sgprSrdB:sgprSrdB+3], s[sgprScalarGlobalReadOffsetB+4], offen offset:0 // G -> Reg 0_0_5_0

label_0012:                                        // 

s_waitcnt lgkmcnt(0)                               // lgkmcnt=0 vmcnt=-10prefetch wait for local write

// Skip force waitcnt0
s_barrier //


/* local read prefetch a */

_ds_load_b64 v[vgprValuA_X0_I0+0:vgprValuA_X0_I0+0+1], v[vgprLocalReadAddrA] offset:0 // L -> Reg lro=0 swapByteOffset=0 ti=16 vIdx=0 rIdx=0 oIdx=0 buffer=0 iui=0
_ds_load_b64 v[vgprValuA_X0_I0+2:vgprValuA_X0_I0+2+1], v[vgprLocalReadAddrA] offset:2176 // L -> Reg lro=0 swapByteOffset=0 ti=16 vIdx=1 rIdx=0 oIdx=0 buffer=0 iui=0
	;; [unrolled: 1-line block ×9, first 2 shown]


/* local read prefetch b */

_ds_load_b64 v[vgprValuB_X0_I0+0:vgprValuB_X0_I0+0+1], v[vgprLocalReadAddrB] offset:0 // L -> Reg lro=0 swapByteOffset=0 ti=64 vIdx=0 rIdx=0 oIdx=0 buffer=0 iui=0
_ds_load_b64 v[vgprValuB_X0_I0+2:vgprValuB_X0_I0+2+1], v[vgprLocalReadAddrB] offset:9216 // L -> Reg lro=0 swapByteOffset=0 ti=64 vIdx=1 rIdx=0 oIdx=0 buffer=0 iui=0
	;; [unrolled: 1-line block ×3, first 2 shown]


/* local read inc a */

/* N/A, lro->16 */
/* self.localReadDoCntA 1 self.localReadDoCntB 1 */


/* local read inc b */

/* N/A, lro->16 */
/* self.localReadDoCntA 1 self.localReadDoCntB 1 */


	;; [unrolled: 1-line block ×3, first 2 shown]
/******************************************/
/* Unrolled Loop(s) - Begin               */
/******************************************/

openLoopL_13:
s_cmp_eq_u32 s[sgprLoopCounterL], 0x1              // LoopCounterL < EndCounter
s_cbranch_scc1 label_0014                          // PGR=2 but only 1 loop, toPGR1
s_cmp_le_u32 s[sgprLoopCounterL], 0x2              // LoopCounterL < EndCounter
s_cbranch_scc1 LoopEndL_evenexit_4                 // do not enter LoopL
LoopBeginL_1:


/******************************************/
/* Unrolled Loop 1/2 - Begin              */
/******************************************/

label_0015: // LoopCopy1 


/* Begin Each Unroll: Check VGPR.checkin for INT8 LW */


	;; [unrolled: 1-line block ×3, first 2 shown]
/* iter 0 */

/*  grEndMfmaIndex:12, lwStartMfmaIndex:72, lwEndMfmaIndex:86  */
/*  numMfmaForLR:16, barrierMfmaIndex:91, LocalWritePerMfma:1.665 */
/*  mfmaIndex:0  */
s_waitcnt lgkmcnt(0)                               // lgkmcnt=0 vmcnt=-1wait for prior local read local write old=0, new=0 newLW=0 newLR=0
v_mfma_f32_16x16x16_f16 a[0+0:3+0], v[vgprValuB_X0_I0+0+0+0:vgprValuB_X0_I0+0+0+0+1], v[vgprValuA_X0_I0+0+0+0:vgprValuA_X0_I0+0+0+0+1], a[0:3]
/*  mfmaIndex:1  */
_ds_load_b64 v[vgprValuA_X1_I0+0:vgprValuA_X1_I0+0+1], v[vgprLocalReadAddrA] offset:32 // L -> Reg lro=16 swapByteOffset=0 ti=16 vIdx=0 rIdx=0 oIdx=0 buffer=1 iui=0

/* global read inc A loopL */
s_add_u32 s[sgprSrdA+0], s[sgprSrdA+0], s[sgprGlobalReadIncsA+0] // gra SRD += inc(lower)
v_mfma_f32_16x16x16_f16 a[4+0:7+0], v[vgprValuB_X0_I0+0+0+0:vgprValuB_X0_I0+0+0+0+1], v[vgprValuA_X0_I0+2+0+0:vgprValuA_X0_I0+2+0+0+1], a[4:7]
/*  mfmaIndex:2  */
_ds_load_b64 v[vgprValuB_X1_I0+0:vgprValuB_X1_I0+0+1], v[vgprLocalReadAddrB] offset:32 // L -> Reg lro=16 swapByteOffset=0 ti=64 vIdx=0 rIdx=0 oIdx=0 buffer=1 iui=0
s_addc_u32  s[sgprSrdA+1], s[sgprSrdA+1], 0        // gra SRD += inc(upper)
v_mfma_f32_16x16x16_f16 a[8+0:11+0], v[vgprValuB_X0_I0+0+0+0:vgprValuB_X0_I0+0+0+0+1], v[vgprValuA_X0_I0+4+0+0:vgprValuA_X0_I0+4+0+0+1], a[8:11]
/*  mfmaIndex:3  */
_ds_load_b64 v[vgprValuA_X1_I0+2:vgprValuA_X1_I0+2+1], v[vgprLocalReadAddrA] offset:2208 // L -> Reg lro=16 swapByteOffset=0 ti=16 vIdx=1 rIdx=0 oIdx=0 buffer=1 iui=0
s_sub_u32 s[sgprShadowLimitA+0], s[sgprShadowLimitA+0], s[sgprGlobalReadIncsA+0] // limit -= inc)
v_mfma_f32_16x16x16_f16 a[12+0:15+0], v[vgprValuB_X0_I0+0+0+0:vgprValuB_X0_I0+0+0+0+1], v[vgprValuA_X0_I0+6+0+0:vgprValuA_X0_I0+6+0+0+1], a[12:15]
/*  mfmaIndex:4  */
_ds_load_b64 v[vgprValuA_X1_I0+4:vgprValuA_X1_I0+4+1], v[vgprLocalReadAddrA] offset:4384 // L -> Reg lro=16 swapByteOffset=0 ti=16 vIdx=2 rIdx=0 oIdx=0 buffer=1 iui=0
s_subb_u32 s[sgprShadowLimitA+1], s[sgprShadowLimitA+1], 0 // limit -= inc)
v_mfma_f32_16x16x16_f16 a[16+0:19+0], v[vgprValuB_X0_I0+0+0+0:vgprValuB_X0_I0+0+0+0+1], v[vgprValuA_X0_I0+8+0+0:vgprValuA_X0_I0+8+0+0+1], a[16:19]
/*  mfmaIndex:5  */
_ds_load_b64 v[vgprValuA_X1_I0+6:vgprValuA_X1_I0+6+1], v[vgprLocalReadAddrA] offset:6560 // L -> Reg lro=16 swapByteOffset=0 ti=16 vIdx=3 rIdx=0 oIdx=0 buffer=1 iui=0
s_cmp_eq_u32 s[sgprShadowLimitA+1], 0              // are we within 2^32?
v_mfma_f32_16x16x16_f16 a[20+0:23+0], v[vgprValuB_X0_I0+0+0+0:vgprValuB_X0_I0+0+0+0+1], v[vgprValuA_X0_I0+10+0+0:vgprValuA_X0_I0+10+0+0+1], a[20:23]
/*  mfmaIndex:6  */
_ds_load_b64 v[vgprValuA_X1_I0+8:vgprValuA_X1_I0+8+1], v[vgprLocalReadAddrA] offset:8736 // L -> Reg lro=16 swapByteOffset=0 ti=16 vIdx=4 rIdx=0 oIdx=0 buffer=1 iui=0
s_cmov_b32 s[sgprSrdA+2], s[sgprShadowLimitA+0]    // Move shadow to real if we are within 2^32
v_mfma_f32_16x16x16_f16 a[24+0:27+0], v[vgprValuB_X0_I0+0+0+0:vgprValuB_X0_I0+0+0+0+1], v[vgprValuA_X0_I0+12+0+0:vgprValuA_X0_I0+12+0+0+1], a[24:27]
/*  mfmaIndex:7  */
_ds_load_b64 v[vgprValuA_X1_I0+10:vgprValuA_X1_I0+10+1], v[vgprLocalReadAddrA] offset:10912 // L -> Reg lro=16 swapByteOffset=0 ti=16 vIdx=5 rIdx=0 oIdx=0 buffer=1 iui=0

/* global read inc B loopL */
s_add_u32 s[sgprSrdB+0], s[sgprSrdB+0], s[sgprGlobalReadIncsB+0] // gra SRD += inc(lower)
v_mfma_f32_16x16x16_f16 a[28+0:31+0], v[vgprValuB_X0_I0+0+0+0:vgprValuB_X0_I0+0+0+0+1], v[vgprValuA_X0_I0+14+0+0:vgprValuA_X0_I0+14+0+0+1], a[28:31]
/*  mfmaIndex:8  */
_ds_load_b64 v[vgprValuA_X1_I0+12:vgprValuA_X1_I0+12+1], v[vgprLocalReadAddrA] offset:13088 // L -> Reg lro=16 swapByteOffset=0 ti=16 vIdx=6 rIdx=0 oIdx=0 buffer=1 iui=0
s_addc_u32  s[sgprSrdB+1], s[sgprSrdB+1], 0        // gra SRD += inc(upper)
v_mfma_f32_16x16x16_f16 a[32+0:35+0], v[vgprValuB_X0_I0+0+0+0:vgprValuB_X0_I0+0+0+0+1], v[vgprValuA_X0_I0+16+0+0:vgprValuA_X0_I0+16+0+0+1], a[32:35]
/*  mfmaIndex:9  */
_ds_load_b64 v[vgprValuA_X1_I0+14:vgprValuA_X1_I0+14+1], v[vgprLocalReadAddrA] offset:15264 // L -> Reg lro=16 swapByteOffset=0 ti=16 vIdx=7 rIdx=0 oIdx=0 buffer=1 iui=0
s_sub_u32 s[sgprShadowLimitB+0], s[sgprShadowLimitB+0], s[sgprGlobalReadIncsB+0] // limit -= inc)
v_mfma_f32_16x16x16_f16 a[68+0:71+0], v[vgprValuB_X0_I0+2+0+0:vgprValuB_X0_I0+2+0+0+1], v[vgprValuA_X0_I0+16+0+0:vgprValuA_X0_I0+16+0+0+1], a[68:71]
/*  mfmaIndex:10  */
_ds_load_b64 v[vgprValuA_X1_I0+16:vgprValuA_X1_I0+16+1], v[vgprLocalReadAddrA] offset:17440 // L -> Reg lro=16 swapByteOffset=0 ti=16 vIdx=8 rIdx=0 oIdx=0 buffer=1 iui=0
s_subb_u32 s[sgprShadowLimitB+1], s[sgprShadowLimitB+1], 0 // limit -= inc)
v_mfma_f32_16x16x16_f16 a[64+0:67+0], v[vgprValuB_X0_I0+2+0+0:vgprValuB_X0_I0+2+0+0+1], v[vgprValuA_X0_I0+14+0+0:vgprValuA_X0_I0+14+0+0+1], a[64:67]
/*  mfmaIndex:11  */
_ds_load_b64 v[vgprValuB_X1_I0+2:vgprValuB_X1_I0+2+1], v[vgprLocalReadAddrB] offset:9248 // L -> Reg lro=16 swapByteOffset=0 ti=64 vIdx=1 rIdx=0 oIdx=0 buffer=1 iui=0
s_cmp_eq_u32 s[sgprShadowLimitB+1], 0              // are we within 2^32?
v_mfma_f32_16x16x16_f16 a[60+0:63+0], v[vgprValuB_X0_I0+2+0+0:vgprValuB_X0_I0+2+0+0+1], v[vgprValuA_X0_I0+12+0+0:vgprValuA_X0_I0+12+0+0+1], a[60:63]
/*  mfmaIndex:12  */
_ds_load_b64 v[vgprValuB_X1_I0+4:vgprValuB_X1_I0+4+1], v[vgprLocalReadAddrB] offset:18464 // L -> Reg lro=16 swapByteOffset=0 ti=64 vIdx=2 rIdx=0 oIdx=0 buffer=1 iui=0
s_cmov_b32 s[sgprSrdB+2], s[sgprShadowLimitB+0]    // Move shadow to real if we are within 2^32
v_mfma_f32_16x16x16_f16 a[56+0:59+0], v[vgprValuB_X0_I0+2+0+0:vgprValuB_X0_I0+2+0+0+1], v[vgprValuA_X0_I0+10+0+0:vgprValuA_X0_I0+10+0+0+1], a[56:59]
/*  mfmaIndex:13  */
/* localReadsVacancy: latencyLeft 2 */
v_mfma_f32_16x16x16_f16 a[52+0:55+0], v[vgprValuB_X0_I0+2+0+0:vgprValuB_X0_I0+2+0+0+1], v[vgprValuA_X0_I0+8+0+0:vgprValuA_X0_I0+8+0+0+1], a[52:55]
/*  mfmaIndex:14  */
/* localReadsVacancy: latencyLeft 2 */
	;; [unrolled: 3-line block ×14, first 2 shown]
v_mfma_f32_16x16x16_f16 a[104+0:107+0], v[vgprValuB_X0_I0+4+0+0:vgprValuB_X0_I0+4+0+0+1], v[vgprValuA_X0_I0+16+0+0:vgprValuA_X0_I0+16+0+0+1], a[104:107]
/* numPrefetchIter=0 */
/* dataAtIterA=-1 numReadsIterA=1 skipReadsIterA=1 readsPerIterA=9 */
/* dataAtIterB=-1 numReadsIterB=1 skipReadsIterB=1 readsPerIterB=3 */


/* iter 1 */

/*  grEndMfmaIndex:12, lwStartMfmaIndex:72, lwEndMfmaIndex:86  */
/*  numMfmaForLR:16, barrierMfmaIndex:91, LocalWritePerMfma:1.665 */
/*  mfmaIndex:27  */
_ds_load_b64 v[vgprValuA_X0_I0+0:vgprValuA_X0_I0+0+1], v[vgprLocalReadAddrA] offset:64 // L -> Reg lro=32 swapByteOffset=0 ti=16 vIdx=0 rIdx=0 oIdx=0 buffer=0 iui=0
s_waitcnt lgkmcnt(1)                               // lgkmcnt=0 vmcnt=-1wait for prior local read local write old=0, new=1 newLW=0 newLR=1
v_mfma_f32_16x16x16_f16 a[0+0:3+0], v[vgprValuB_X1_I0+0+0+0:vgprValuB_X1_I0+0+0+0+1], v[vgprValuA_X1_I0+0+0+0:vgprValuA_X1_I0+0+0+0+1], a[0:3]
/*  mfmaIndex:28  */
_ds_load_b64 v[vgprValuB_X0_I0+0:vgprValuB_X0_I0+0+1], v[vgprLocalReadAddrB] offset:64 // L -> Reg lro=32 swapByteOffset=0 ti=64 vIdx=0 rIdx=0 oIdx=0 buffer=0 iui=0
v_mfma_f32_16x16x16_f16 a[4+0:7+0], v[vgprValuB_X1_I0+0+0+0:vgprValuB_X1_I0+0+0+0+1], v[vgprValuA_X1_I0+2+0+0:vgprValuA_X1_I0+2+0+0+1], a[4:7]
/*  mfmaIndex:29  */
_ds_load_b64 v[vgprValuA_X0_I0+2:vgprValuA_X0_I0+2+1], v[vgprLocalReadAddrA] offset:2240 // L -> Reg lro=32 swapByteOffset=0 ti=16 vIdx=1 rIdx=0 oIdx=0 buffer=0 iui=0
v_mfma_f32_16x16x16_f16 a[8+0:11+0], v[vgprValuB_X1_I0+0+0+0:vgprValuB_X1_I0+0+0+0+1], v[vgprValuA_X1_I0+4+0+0:vgprValuA_X1_I0+4+0+0+1], a[8:11]
/*  mfmaIndex:30  */
_ds_load_b64 v[vgprValuA_X0_I0+4:vgprValuA_X0_I0+4+1], v[vgprLocalReadAddrA] offset:4416 // L -> Reg lro=32 swapByteOffset=0 ti=16 vIdx=2 rIdx=0 oIdx=0 buffer=0 iui=0
	;; [unrolled: 3-line block ×8, first 2 shown]
v_mfma_f32_16x16x16_f16 a[68+0:71+0], v[vgprValuB_X1_I0+2+0+0:vgprValuB_X1_I0+2+0+0+1], v[vgprValuA_X1_I0+16+0+0:vgprValuA_X1_I0+16+0+0+1], a[68:71]
/*  mfmaIndex:37  */
_ds_load_b64 v[vgprValuB_X0_I0+2:vgprValuB_X0_I0+2+1], v[vgprLocalReadAddrB] offset:9280 // L -> Reg lro=32 swapByteOffset=0 ti=64 vIdx=1 rIdx=0 oIdx=0 buffer=0 iui=0
v_mfma_f32_16x16x16_f16 a[64+0:67+0], v[vgprValuB_X1_I0+2+0+0:vgprValuB_X1_I0+2+0+0+1], v[vgprValuA_X1_I0+14+0+0:vgprValuA_X1_I0+14+0+0+1], a[64:67]
/*  mfmaIndex:38  */
_ds_load_b64 v[vgprValuB_X0_I0+4:vgprValuB_X0_I0+4+1], v[vgprLocalReadAddrB] offset:18496 // L -> Reg lro=32 swapByteOffset=0 ti=64 vIdx=2 rIdx=0 oIdx=0 buffer=0 iui=0
v_mfma_f32_16x16x16_f16 a[60+0:63+0], v[vgprValuB_X1_I0+2+0+0:vgprValuB_X1_I0+2+0+0+1], v[vgprValuA_X1_I0+12+0+0:vgprValuA_X1_I0+12+0+0+1], a[60:63]
/*  mfmaIndex:39  */
/* localReadsVacancy: latencyLeft 2 */
v_mfma_f32_16x16x16_f16 a[56+0:59+0], v[vgprValuB_X1_I0+2+0+0:vgprValuB_X1_I0+2+0+0+1], v[vgprValuA_X1_I0+10+0+0:vgprValuA_X1_I0+10+0+0+1], a[56:59]
/*  mfmaIndex:40  */
/* localReadsVacancy: latencyLeft 2 */
	;; [unrolled: 3-line block ×15, first 2 shown]
v_mfma_f32_16x16x16_f16 a[104+0:107+0], v[vgprValuB_X1_I0+4+0+0:vgprValuB_X1_I0+4+0+0+1], v[vgprValuA_X1_I0+16+0+0:vgprValuA_X1_I0+16+0+0+1], a[104:107]
/* numPrefetchIter=0 */
/* dataAtIterA=0 numReadsIterA=2 skipReadsIterA=1 readsPerIterA=9 */
/* dataAtIterB=0 numReadsIterB=2 skipReadsIterB=1 readsPerIterB=3 */


/* iter 2 (reset local read pointers iteration)  (swap local read pointers iteration)  */

/*  grEndMfmaIndex:12, lwStartMfmaIndex:72, lwEndMfmaIndex:86  */
/*  numMfmaForLR:16, barrierMfmaIndex:91, LocalWritePerMfma:1.665 */
/*  mfmaIndex:54  */
_ds_load_b64 v[vgprValuA_X1_I0+0:vgprValuA_X1_I0+0+1], v[vgprLocalReadAddrA] offset:96 // L -> Reg lro=48 swapByteOffset=0 ti=16 vIdx=0 rIdx=0 oIdx=0 buffer=1 iui=0
s_waitcnt lgkmcnt(1)                               // lgkmcnt=0 vmcnt=-1wait for prior local read local write old=0, new=1 newLW=0 newLR=1
v_mfma_f32_16x16x16_f16 a[0+0:3+0], v[vgprValuB_X0_I0+0+0+0:vgprValuB_X0_I0+0+0+0+1], v[vgprValuA_X0_I0+0+0+0:vgprValuA_X0_I0+0+0+0+1], a[0:3]
/*  mfmaIndex:55  */
_ds_load_b64 v[vgprValuB_X1_I0+0:vgprValuB_X1_I0+0+1], v[vgprLocalReadAddrB] offset:96 // L -> Reg lro=48 swapByteOffset=0 ti=64 vIdx=0 rIdx=0 oIdx=0 buffer=1 iui=0
v_mfma_f32_16x16x16_f16 a[4+0:7+0], v[vgprValuB_X0_I0+0+0+0:vgprValuB_X0_I0+0+0+0+1], v[vgprValuA_X0_I0+2+0+0:vgprValuA_X0_I0+2+0+0+1], a[4:7]
/*  mfmaIndex:56  */
_ds_load_b64 v[vgprValuA_X1_I0+2:vgprValuA_X1_I0+2+1], v[vgprLocalReadAddrA] offset:2272 // L -> Reg lro=48 swapByteOffset=0 ti=16 vIdx=1 rIdx=0 oIdx=0 buffer=1 iui=0
v_mfma_f32_16x16x16_f16 a[8+0:11+0], v[vgprValuB_X0_I0+0+0+0:vgprValuB_X0_I0+0+0+0+1], v[vgprValuA_X0_I0+4+0+0:vgprValuA_X0_I0+4+0+0+1], a[8:11]
/*  mfmaIndex:57  */
_ds_load_b64 v[vgprValuA_X1_I0+4:vgprValuA_X1_I0+4+1], v[vgprLocalReadAddrA] offset:4448 // L -> Reg lro=48 swapByteOffset=0 ti=16 vIdx=2 rIdx=0 oIdx=0 buffer=1 iui=0
	;; [unrolled: 3-line block ×8, first 2 shown]
v_mfma_f32_16x16x16_f16 a[68+0:71+0], v[vgprValuB_X0_I0+2+0+0:vgprValuB_X0_I0+2+0+0+1], v[vgprValuA_X0_I0+16+0+0:vgprValuA_X0_I0+16+0+0+1], a[68:71]
/*  mfmaIndex:64  */
_ds_load_b64 v[vgprValuB_X1_I0+2:vgprValuB_X1_I0+2+1], v[vgprLocalReadAddrB] offset:9312 // L -> Reg lro=48 swapByteOffset=0 ti=64 vIdx=1 rIdx=0 oIdx=0 buffer=1 iui=0
v_mfma_f32_16x16x16_f16 a[64+0:67+0], v[vgprValuB_X0_I0+2+0+0:vgprValuB_X0_I0+2+0+0+1], v[vgprValuA_X0_I0+14+0+0:vgprValuA_X0_I0+14+0+0+1], a[64:67]
/*  mfmaIndex:65  */
_ds_load_b64 v[vgprValuB_X1_I0+4:vgprValuB_X1_I0+4+1], v[vgprLocalReadAddrB] offset:18528 // L -> Reg lro=48 swapByteOffset=0 ti=64 vIdx=2 rIdx=0 oIdx=0 buffer=1 iui=0
v_mfma_f32_16x16x16_f16 a[60+0:63+0], v[vgprValuB_X0_I0+2+0+0:vgprValuB_X0_I0+2+0+0+1], v[vgprValuA_X0_I0+12+0+0:vgprValuA_X0_I0+12+0+0+1], a[60:63]
/*  mfmaIndex:66  */
/* localReadsVacancy: latencyLeft 2 */
v_mfma_f32_16x16x16_f16 a[56+0:59+0], v[vgprValuB_X0_I0+2+0+0:vgprValuB_X0_I0+2+0+0+1], v[vgprValuA_X0_I0+10+0+0:vgprValuA_X0_I0+10+0+0+1], a[56:59]
/*  mfmaIndex:67  */
/* localReadsVacancy: latencyLeft 2 */
	;; [unrolled: 3-line block ×6, first 2 shown]
/* 1 LDS buffer: read-sync-write */
s_waitcnt lgkmcnt(0)                               // 
s_barrier                                          // 
v_mfma_f32_16x16x16_f16 a[36+0:39+0], v[vgprValuB_X0_I0+2+0+0:vgprValuB_X0_I0+2+0+0+1], v[vgprValuA_X0_I0+0+0+0:vgprValuA_X0_I0+0+0+0+1], a[36:39]
/*  mfmaIndex:72  */
s_setprio 3                                        // store optimization
/* sched write - iter 2 writesPerItem=1 */
s_waitcnt vmcnt(0)                                 // lgkmcnt=-1 vmcnt=0wait for global read before writing to local
_ds_store_b32 v[vgprLocalWriteAddrA], v[vgprG2LA+0] offset:0 // lwoA_0_0_0_0 = (0*LSCA)*(MT0I+PAD) + (0*LSPA) = 0
_buffer_load_b32 v[vgprG2LA+0], v[vgprGlobalReadOffsetA+0], s[sgprSrdA:sgprSrdA+3], 0, offen offset:0 // G -> Reg 0_0_0_0
/* sched write - iter 2 writesPerItem=1 */
s_waitcnt vmcnt(0)                                 // lgkmcnt=-1 vmcnt=0wait for global read before writing to local
_ds_store_b32 v[vgprLocalWriteAddrA], v[vgprG2LA+1] offset:1088 // lwoA_0_0_1_0 = (0*LSCA)*(MT0I+PAD) + (1*LSPA) = 1088
v_mfma_f32_16x16x16_f16 a[72+0:75+0], v[vgprValuB_X0_I0+4+0+0:vgprValuB_X0_I0+4+0+0+1], v[vgprValuA_X0_I0+0+0+0:vgprValuA_X0_I0+0+0+0+1], a[72:75]
/*  mfmaIndex:73  */
_buffer_load_b32 v[vgprG2LA+1], v[vgprGlobalReadOffsetA+0], s[sgprSrdA:sgprSrdA+3], s[sgprScalarGlobalReadOffsetA+0], offen offset:0 // G -> Reg 0_0_1_0
/* sched write - iter 2 writesPerItem=1 */
s_waitcnt vmcnt(0)                                 // lgkmcnt=-1 vmcnt=0wait for global read before writing to local
_ds_store_b32 v[vgprLocalWriteAddrA], v[vgprG2LA+2] offset:2176 // lwoA_0_0_2_0 = (0*LSCA)*(MT0I+PAD) + (2*LSPA) = 2176
_buffer_load_b32 v[vgprG2LA+2], v[vgprGlobalReadOffsetA+0], s[sgprSrdA:sgprSrdA+3], s[sgprScalarGlobalReadOffsetA+1], offen offset:0 // G -> Reg 0_0_2_0
/* sched write - iter 2 writesPerItem=1 */
s_waitcnt vmcnt(0)                                 // lgkmcnt=-1 vmcnt=0wait for global read before writing to local
_ds_store_b32 v[vgprLocalWriteAddrA], v[vgprG2LA+3] offset:3264 // lwoA_0_0_3_0 = (0*LSCA)*(MT0I+PAD) + (3*LSPA) = 3264
v_mfma_f32_16x16x16_f16 a[76+0:79+0], v[vgprValuB_X0_I0+4+0+0:vgprValuB_X0_I0+4+0+0+1], v[vgprValuA_X0_I0+2+0+0:vgprValuA_X0_I0+2+0+0+1], a[76:79]
/*  mfmaIndex:74  */
_buffer_load_b32 v[vgprG2LA+3], v[vgprGlobalReadOffsetA+0], s[sgprSrdA:sgprSrdA+3], s[sgprScalarGlobalReadOffsetA+2], offen offset:0 // G -> Reg 0_0_3_0
/* sched write - iter 2 writesPerItem=1 */
s_waitcnt vmcnt(0)                                 // lgkmcnt=-1 vmcnt=0wait for global read before writing to local
_ds_store_b32 v[vgprLocalWriteAddrA], v[vgprG2LA+4] offset:4352 // lwoA_0_0_4_0 = (0*LSCA)*(MT0I+PAD) + (4*LSPA) = 4352
_buffer_load_b32 v[vgprG2LA+4], v[vgprGlobalReadOffsetA+0], s[sgprSrdA:sgprSrdA+3], s[sgprScalarGlobalReadOffsetA+3], offen offset:0 // G -> Reg 0_0_4_0
v_mfma_f32_16x16x16_f16 a[80+0:83+0], v[vgprValuB_X0_I0+4+0+0:vgprValuB_X0_I0+4+0+0+1], v[vgprValuA_X0_I0+4+0+0:vgprValuA_X0_I0+4+0+0+1], a[80:83]
/*  mfmaIndex:75  */
/* sched write - iter 2 writesPerItem=1 */
s_waitcnt vmcnt(0)                                 // lgkmcnt=-1 vmcnt=0wait for global read before writing to local
_ds_store_b32 v[vgprLocalWriteAddrA], v[vgprG2LA+5] offset:5440 // lwoA_0_0_5_0 = (0*LSCA)*(MT0I+PAD) + (5*LSPA) = 5440
_buffer_load_b32 v[vgprG2LA+5], v[vgprGlobalReadOffsetA+0], s[sgprSrdA:sgprSrdA+3], s[sgprScalarGlobalReadOffsetA+4], offen offset:0 // G -> Reg 0_0_5_0
/* sched write - iter 2 writesPerItem=1 */
s_waitcnt vmcnt(0)                                 // lgkmcnt=-1 vmcnt=0wait for global read before writing to local
_ds_store_b32 v[vgprLocalWriteAddrA], v[vgprG2LA+6] offset:6528 // lwoA_0_0_6_0 = (0*LSCA)*(MT0I+PAD) + (6*LSPA) = 6528
v_mfma_f32_16x16x16_f16 a[84+0:87+0], v[vgprValuB_X0_I0+4+0+0:vgprValuB_X0_I0+4+0+0+1], v[vgprValuA_X0_I0+6+0+0:vgprValuA_X0_I0+6+0+0+1], a[84:87]
/*  mfmaIndex:76  */
_buffer_load_b32 v[vgprG2LA+6], v[vgprGlobalReadOffsetA+0], s[sgprSrdA:sgprSrdA+3], s[sgprScalarGlobalReadOffsetA+5], offen offset:0 // G -> Reg 0_0_6_0
/* sched write - iter 2 writesPerItem=1 */
s_waitcnt vmcnt(0)                                 // lgkmcnt=-1 vmcnt=0wait for global read before writing to local
_ds_store_b32 v[vgprLocalWriteAddrA], v[vgprG2LA+7] offset:7616 // lwoA_0_0_7_0 = (0*LSCA)*(MT0I+PAD) + (7*LSPA) = 7616
_buffer_load_b32 v[vgprG2LA+7], v[vgprGlobalReadOffsetA+0], s[sgprSrdA:sgprSrdA+3], s[sgprScalarGlobalReadOffsetA+6], offen offset:0 // G -> Reg 0_0_7_0
/* sched write - iter 2 writesPerItem=1 */
s_waitcnt vmcnt(0)                                 // lgkmcnt=-1 vmcnt=0wait for global read before writing to local
_ds_store_b32 v[vgprLocalWriteAddrA], v[vgprG2LA+8] offset:8704 // lwoA_0_0_8_0 = (0*LSCA)*(MT0I+PAD) + (8*LSPA) = 8704
v_mfma_f32_16x16x16_f16 a[88+0:91+0], v[vgprValuB_X0_I0+4+0+0:vgprValuB_X0_I0+4+0+0+1], v[vgprValuA_X0_I0+8+0+0:vgprValuA_X0_I0+8+0+0+1], a[88:91]
/*  mfmaIndex:77  */
_buffer_load_b32 v[vgprG2LA+8], v[vgprGlobalReadOffsetA+0], s[sgprSrdA:sgprSrdA+3], s[sgprScalarGlobalReadOffsetA+7], offen offset:0 // G -> Reg 0_0_8_0
/* sched write - iter 2 writesPerItem=1 */
s_waitcnt vmcnt(0)                                 // lgkmcnt=-1 vmcnt=0wait for global read before writing to local
_ds_store_b32 v[vgprLocalWriteAddrA], v[vgprG2LA+9] offset:9792 // lwoA_0_0_9_0 = (0*LSCA)*(MT0I+PAD) + (9*LSPA) = 9792
_buffer_load_b32 v[vgprG2LA+9], v[vgprGlobalReadOffsetA+0], s[sgprSrdA:sgprSrdA+3], s[sgprScalarGlobalReadOffsetA+8], offen offset:0 // G -> Reg 0_0_9_0
v_mfma_f32_16x16x16_f16 a[92+0:95+0], v[vgprValuB_X0_I0+4+0+0:vgprValuB_X0_I0+4+0+0+1], v[vgprValuA_X0_I0+10+0+0:vgprValuA_X0_I0+10+0+0+1], a[92:95]
/*  mfmaIndex:78  */
/* sched write - iter 2 writesPerItem=1 */
s_waitcnt vmcnt(0)                                 // lgkmcnt=-1 vmcnt=0wait for global read before writing to local
_ds_store_b32 v[vgprLocalWriteAddrA], v[vgprG2LA+10] offset:10880 // lwoA_0_0_10_0 = (0*LSCA)*(MT0I+PAD) + (10*LSPA) = 10880
_buffer_load_b32 v[vgprG2LA+10], v[vgprGlobalReadOffsetA+0], s[sgprSrdA:sgprSrdA+3], s[sgprScalarGlobalReadOffsetA+9], offen offset:0 // G -> Reg 0_0_10_0
/* sched write - iter 2 writesPerItem=1 */
s_waitcnt vmcnt(0)                                 // lgkmcnt=-1 vmcnt=0wait for global read before writing to local
_ds_store_b32 v[vgprLocalWriteAddrA], v[vgprG2LA+11] offset:11968 // lwoA_0_0_11_0 = (0*LSCA)*(MT0I+PAD) + (11*LSPA) = 11968
v_mfma_f32_16x16x16_f16 a[96+0:99+0], v[vgprValuB_X0_I0+4+0+0:vgprValuB_X0_I0+4+0+0+1], v[vgprValuA_X0_I0+12+0+0:vgprValuA_X0_I0+12+0+0+1], a[96:99]
/*  mfmaIndex:79  */
_buffer_load_b32 v[vgprG2LA+11], v[vgprGlobalReadOffsetA+0], s[sgprSrdA:sgprSrdA+3], s[sgprScalarGlobalReadOffsetA+10], offen offset:0 // G -> Reg 0_0_11_0
/* sched write - iter 2 writesPerItem=1 */
s_waitcnt vmcnt(0)                                 // lgkmcnt=-1 vmcnt=0wait for global read before writing to local
_ds_store_b32 v[vgprLocalWriteAddrA], v[vgprG2LA+12] offset:13056 // lwoA_0_0_12_0 = (0*LSCA)*(MT0I+PAD) + (12*LSPA) = 13056
_buffer_load_b32 v[vgprG2LA+12], v[vgprGlobalReadOffsetA+0], s[sgprSrdA:sgprSrdA+3], s[sgprScalarGlobalReadOffsetA+11], offen offset:0 // G -> Reg 0_0_12_0
/* sched write - iter 2 writesPerItem=1 */
s_waitcnt vmcnt(0)                                 // lgkmcnt=-1 vmcnt=0wait for global read before writing to local
_ds_store_b32 v[vgprLocalWriteAddrA], v[vgprG2LA+13] offset:14144 // lwoA_0_0_13_0 = (0*LSCA)*(MT0I+PAD) + (13*LSPA) = 14144
v_mfma_f32_16x16x16_f16 a[100+0:103+0], v[vgprValuB_X0_I0+4+0+0:vgprValuB_X0_I0+4+0+0+1], v[vgprValuA_X0_I0+14+0+0:vgprValuA_X0_I0+14+0+0+1], a[100:103]
/*  mfmaIndex:80  */
_buffer_load_b32 v[vgprG2LA+13], v[vgprGlobalReadOffsetA+0], s[sgprSrdA:sgprSrdA+3], s[sgprScalarGlobalReadOffsetA+12], offen offset:0 // G -> Reg 0_0_13_0
/* sched write - iter 2 writesPerItem=1 */
s_waitcnt vmcnt(0)                                 // lgkmcnt=-1 vmcnt=0wait for global read before writing to local
_ds_store_b32 v[vgprLocalWriteAddrA], v[vgprG2LA+14] offset:15232 // lwoA_0_0_14_0 = (0*LSCA)*(MT0I+PAD) + (14*LSPA) = 15232
_buffer_load_b32 v[vgprG2LA+14], v[vgprGlobalReadOffsetA+0], s[sgprSrdA:sgprSrdA+3], s[sgprScalarGlobalReadOffsetA+13], offen offset:0 // G -> Reg 0_0_14_0

/* local read swap offsets a */

/* local read swap offsets b */

/* local read init pointers a */

/* localReadInitPointers */

/* local read init pointers b */

/* localReadInitPointers */
v_mfma_f32_16x16x16_f16 a[104+0:107+0], v[vgprValuB_X0_I0+4+0+0:vgprValuB_X0_I0+4+0+0+1], v[vgprValuA_X0_I0+16+0+0:vgprValuA_X0_I0+16+0+0+1], a[104:107]
/* numPrefetchIter=0 */
/* dataAtIterA=1 numReadsIterA=3 skipReadsIterA=1 readsPerIterA=9 */
/* dataAtIterB=1 numReadsIterB=3 skipReadsIterB=1 readsPerIterB=3 */


/* iter 3 (swap and reset local write pointers iteration)  */

/*  grEndMfmaIndex:12, lwStartMfmaIndex:72, lwEndMfmaIndex:86  */
/*  numMfmaForLR:16, barrierMfmaIndex:91, LocalWritePerMfma:1.665 */
/*  mfmaIndex:81  */
/* sched write - iter 3 writesPerItem=1 */
s_waitcnt vmcnt(0)                                 // lgkmcnt=-1 vmcnt=0wait for global read before writing to local
_ds_store_b32 v[vgprLocalWriteAddrA], v[vgprG2LA+15] offset:16320 // lwoA_0_0_15_0 = (0*LSCA)*(MT0I+PAD) + (15*LSPA) = 16320
_buffer_load_b32 v[vgprG2LA+15], v[vgprGlobalReadOffsetA+0], s[sgprSrdA:sgprSrdA+3], s[sgprScalarGlobalReadOffsetA+14], offen offset:0 // G -> Reg 0_0_15_0
/* sched write - iter 3 writesPerItem=1 */
s_waitcnt vmcnt(0)                                 // lgkmcnt=-1 vmcnt=0wait for global read before writing to local
_ds_store_b32 v[vgprLocalWriteAddrA], v[vgprG2LA+16] offset:17408 // lwoA_0_0_16_0 = (0*LSCA)*(MT0I+PAD) + (16*LSPA) = 17408
s_waitcnt lgkmcnt(15)                              // lgkmcnt=0 vmcnt=-1wait for prior local read local write old=0, new=17 newLW=17 newLR=0
v_mfma_f32_16x16x16_f16 a[0+0:3+0], v[vgprValuB_X1_I0+0+0+0:vgprValuB_X1_I0+0+0+0+1], v[vgprValuA_X1_I0+0+0+0:vgprValuA_X1_I0+0+0+0+1], a[0:3]
/*  mfmaIndex:82  */
_buffer_load_b32 v[vgprG2LA+16], v[vgprGlobalReadOffsetA+0], s[sgprSrdA:sgprSrdA+3], s[sgprScalarGlobalReadOffsetA+15], offen offset:0 // G -> Reg 0_0_16_0
/* sched write - iter 3 writesPerItem=1 */
s_waitcnt vmcnt(0)                                 // lgkmcnt=-1 vmcnt=0wait for global read before writing to local
_ds_store_b32 v[vgprLocalWriteAddrA], v[vgprG2LA+17] offset:18496 // lwoA_0_0_17_0 = (0*LSCA)*(MT0I+PAD) + (17*LSPA) = 18496
_buffer_load_b32 v[vgprG2LA+17], v[vgprGlobalReadOffsetA+0], s[sgprSrdA:sgprSrdA+3], s[sgprScalarGlobalReadOffsetA+16], offen offset:0 // G -> Reg 0_0_17_0
/* sched write - iter 3 writesPerItem=1 */
s_waitcnt vmcnt(0)                                 // lgkmcnt=-1 vmcnt=0wait for global read before writing to local
_ds_store_b128 v[vgprLocalWriteAddrB], v[vgprG2LB+0:vgprG2LB+0+3] offset:0 // lwoB_0_0_0_0 = (0*LSCB)*(MT1J+PAD) + (0*LSPB) = 0
v_mfma_f32_16x16x16_f16 a[4+0:7+0], v[vgprValuB_X1_I0+0+0+0:vgprValuB_X1_I0+0+0+0+1], v[vgprValuA_X1_I0+2+0+0:vgprValuA_X1_I0+2+0+0+1], a[4:7]
/*  mfmaIndex:83  */
_buffer_load_b128 v[vgprG2LB+0:vgprG2LB+0+3], v[vgprGlobalReadOffsetB+0], s[sgprSrdB:sgprSrdB+3], 0, offen offset:0 // G -> Reg 0_0_0_0
/* sched write - iter 3 writesPerItem=1 */
s_waitcnt vmcnt(0)                                 // lgkmcnt=-1 vmcnt=0wait for global read before writing to local
_ds_store_b128 v[vgprLocalWriteAddrB], v[vgprG2LB+4:vgprG2LB+4+3] offset:4608 // lwoB_0_0_1_0 = (0*LSCB)*(MT1J+PAD) + (1*LSPB) = 4608
_buffer_load_b128 v[vgprG2LB+4:vgprG2LB+4+3], v[vgprGlobalReadOffsetB+0], s[sgprSrdB:sgprSrdB+3], s[sgprScalarGlobalReadOffsetB+0], offen offset:0 // G -> Reg 0_0_1_0
v_mfma_f32_16x16x16_f16 a[8+0:11+0], v[vgprValuB_X1_I0+0+0+0:vgprValuB_X1_I0+0+0+0+1], v[vgprValuA_X1_I0+4+0+0:vgprValuA_X1_I0+4+0+0+1], a[8:11]
/*  mfmaIndex:84  */
/* sched write - iter 3 writesPerItem=1 */
s_waitcnt vmcnt(0)                                 // lgkmcnt=-1 vmcnt=0wait for global read before writing to local
_ds_store_b128 v[vgprLocalWriteAddrB], v[vgprG2LB+8:vgprG2LB+8+3] offset:9216 // lwoB_0_0_2_0 = (0*LSCB)*(MT1J+PAD) + (2*LSPB) = 9216
_buffer_load_b128 v[vgprG2LB+8:vgprG2LB+8+3], v[vgprGlobalReadOffsetB+0], s[sgprSrdB:sgprSrdB+3], s[sgprScalarGlobalReadOffsetB+1], offen offset:0 // G -> Reg 0_0_2_0
/* sched write - iter 3 writesPerItem=1 */
s_waitcnt vmcnt(0)                                 // lgkmcnt=-1 vmcnt=0wait for global read before writing to local
_ds_store_b128 v[vgprLocalWriteAddrB], v[vgprG2LB+12:vgprG2LB+12+3] offset:13824 // lwoB_0_0_3_0 = (0*LSCB)*(MT1J+PAD) + (3*LSPB) = 13824
v_mfma_f32_16x16x16_f16 a[12+0:15+0], v[vgprValuB_X1_I0+0+0+0:vgprValuB_X1_I0+0+0+0+1], v[vgprValuA_X1_I0+6+0+0:vgprValuA_X1_I0+6+0+0+1], a[12:15]
/*  mfmaIndex:85  */
_buffer_load_b128 v[vgprG2LB+12:vgprG2LB+12+3], v[vgprGlobalReadOffsetB+0], s[sgprSrdB:sgprSrdB+3], s[sgprScalarGlobalReadOffsetB+2], offen offset:0 // G -> Reg 0_0_3_0
/* sched write - iter 3 writesPerItem=1 */
s_waitcnt vmcnt(0)                                 // lgkmcnt=-1 vmcnt=0wait for global read before writing to local
_ds_store_b128 v[vgprLocalWriteAddrB], v[vgprG2LB+16:vgprG2LB+16+3] offset:18432 // lwoB_0_0_4_0 = (0*LSCB)*(MT1J+PAD) + (4*LSPB) = 18432
_buffer_load_b128 v[vgprG2LB+16:vgprG2LB+16+3], v[vgprGlobalReadOffsetB+0], s[sgprSrdB:sgprSrdB+3], s[sgprScalarGlobalReadOffsetB+3], offen offset:0 // G -> Reg 0_0_4_0
/* sched write - iter 3 writesPerItem=1 */
s_waitcnt vmcnt(0)                                 // lgkmcnt=-1 vmcnt=0wait for global read before writing to local
_ds_store_b128 v[vgprLocalWriteAddrB], v[vgprG2LB+20:vgprG2LB+20+3] offset:23040 // lwoB_0_0_5_0 = (0*LSCB)*(MT1J+PAD) + (5*LSPB) = 23040
v_mfma_f32_16x16x16_f16 a[16+0:19+0], v[vgprValuB_X1_I0+0+0+0:vgprValuB_X1_I0+0+0+0+1], v[vgprValuA_X1_I0+8+0+0:vgprValuA_X1_I0+8+0+0+1], a[16:19]
/*  mfmaIndex:86  */
_buffer_load_b128 v[vgprG2LB+20:vgprG2LB+20+3], v[vgprGlobalReadOffsetB+0], s[sgprSrdB:sgprSrdB+3], s[sgprScalarGlobalReadOffsetB+4], offen offset:0 // G -> Reg 0_0_5_0

/* local write swap offsets a */

/* local write swap offsets b */
v_mfma_f32_16x16x16_f16 a[20+0:23+0], v[vgprValuB_X1_I0+0+0+0:vgprValuB_X1_I0+0+0+0+1], v[vgprValuA_X1_I0+10+0+0:vgprValuA_X1_I0+10+0+0+1], a[20:23]
/*  mfmaIndex:87  */
v_mfma_f32_16x16x16_f16 a[24+0:27+0], v[vgprValuB_X1_I0+0+0+0:vgprValuB_X1_I0+0+0+0+1], v[vgprValuA_X1_I0+12+0+0:vgprValuA_X1_I0+12+0+0+1], a[24:27]
/*  mfmaIndex:88  */
	;; [unrolled: 2-line block ×4, first 2 shown]
v_mfma_f32_16x16x16_f16 a[68+0:71+0], v[vgprValuB_X1_I0+2+0+0:vgprValuB_X1_I0+2+0+0+1], v[vgprValuA_X1_I0+16+0+0:vgprValuA_X1_I0+16+0+0+1], a[68:71]
s_setprio 0                                        // store optimization
/*  mfmaIndex:91  */
s_waitcnt lgkmcnt(0)                               // lgkmcnt=0 vmcnt=-13wait for local write
// Skip force waitcnt0
s_barrier //
v_mfma_f32_16x16x16_f16 a[64+0:67+0], v[vgprValuB_X1_I0+2+0+0:vgprValuB_X1_I0+2+0+0+1], v[vgprValuA_X1_I0+14+0+0:vgprValuA_X1_I0+14+0+0+1], a[64:67]
/*  mfmaIndex:92  */
s_setprio 3                                        // store optimization
_ds_load_b64 v[vgprValuA_X0_I0+0:vgprValuA_X0_I0+0+1], v[vgprLocalReadAddrA] offset:0 // L -> Reg lro=0 swapByteOffset=0 ti=16 vIdx=0 rIdx=0 oIdx=0 buffer=0 iui=0
v_mfma_f32_16x16x16_f16 a[60+0:63+0], v[vgprValuB_X1_I0+2+0+0:vgprValuB_X1_I0+2+0+0+1], v[vgprValuA_X1_I0+12+0+0:vgprValuA_X1_I0+12+0+0+1], a[60:63]
/*  mfmaIndex:93  */
_ds_load_b64 v[vgprValuB_X0_I0+0:vgprValuB_X0_I0+0+1], v[vgprLocalReadAddrB] offset:0 // L -> Reg lro=0 swapByteOffset=0 ti=64 vIdx=0 rIdx=0 oIdx=0 buffer=0 iui=0
v_mfma_f32_16x16x16_f16 a[56+0:59+0], v[vgprValuB_X1_I0+2+0+0:vgprValuB_X1_I0+2+0+0+1], v[vgprValuA_X1_I0+10+0+0:vgprValuA_X1_I0+10+0+0+1], a[56:59]
/*  mfmaIndex:94  */
_ds_load_b64 v[vgprValuA_X0_I0+2:vgprValuA_X0_I0+2+1], v[vgprLocalReadAddrA] offset:2176 // L -> Reg lro=0 swapByteOffset=0 ti=16 vIdx=1 rIdx=0 oIdx=0 buffer=0 iui=0
v_mfma_f32_16x16x16_f16 a[52+0:55+0], v[vgprValuB_X1_I0+2+0+0:vgprValuB_X1_I0+2+0+0+1], v[vgprValuA_X1_I0+8+0+0:vgprValuA_X1_I0+8+0+0+1], a[52:55]
/*  mfmaIndex:95  */
_ds_load_b64 v[vgprValuA_X0_I0+4:vgprValuA_X0_I0+4+1], v[vgprLocalReadAddrA] offset:4352 // L -> Reg lro=0 swapByteOffset=0 ti=16 vIdx=2 rIdx=0 oIdx=0 buffer=0 iui=0
	;; [unrolled: 3-line block ×8, first 2 shown]
v_mfma_f32_16x16x16_f16 a[80+0:83+0], v[vgprValuB_X1_I0+4+0+0:vgprValuB_X1_I0+4+0+0+1], v[vgprValuA_X1_I0+4+0+0:vgprValuA_X1_I0+4+0+0+1], a[80:83]
/*  mfmaIndex:102  */
_ds_load_b64 v[vgprValuB_X0_I0+2:vgprValuB_X0_I0+2+1], v[vgprLocalReadAddrB] offset:9216 // L -> Reg lro=0 swapByteOffset=0 ti=64 vIdx=1 rIdx=0 oIdx=0 buffer=0 iui=0
v_mfma_f32_16x16x16_f16 a[84+0:87+0], v[vgprValuB_X1_I0+4+0+0:vgprValuB_X1_I0+4+0+0+1], v[vgprValuA_X1_I0+6+0+0:vgprValuA_X1_I0+6+0+0+1], a[84:87]
/*  mfmaIndex:103  */
_ds_load_b64 v[vgprValuB_X0_I0+4:vgprValuB_X0_I0+4+1], v[vgprLocalReadAddrB] offset:18432 // L -> Reg lro=0 swapByteOffset=0 ti=64 vIdx=2 rIdx=0 oIdx=0 buffer=0 iui=0
v_mfma_f32_16x16x16_f16 a[88+0:91+0], v[vgprValuB_X1_I0+4+0+0:vgprValuB_X1_I0+4+0+0+1], v[vgprValuA_X1_I0+8+0+0:vgprValuA_X1_I0+8+0+0+1], a[88:91]
/*  mfmaIndex:104  */
v_mfma_f32_16x16x16_f16 a[92+0:95+0], v[vgprValuB_X1_I0+4+0+0:vgprValuB_X1_I0+4+0+0+1], v[vgprValuA_X1_I0+10+0+0:vgprValuA_X1_I0+10+0+0+1], a[92:95]
/*  mfmaIndex:105  */
	;; [unrolled: 2-line block ×4, first 2 shown]
v_mfma_f32_16x16x16_f16 a[104+0:107+0], v[vgprValuB_X1_I0+4+0+0:vgprValuB_X1_I0+4+0+0+1], v[vgprValuA_X1_I0+16+0+0:vgprValuA_X1_I0+16+0+0+1], a[104:107]
s_setprio 0                                        // store optimization
/* numPrefetchIter=1 */
/* dataAtIterA=2 numReadsIterA=3 skipReadsIterA=1 readsPerIterA=9 */
/* dataAtIterB=2 numReadsIterB=3 skipReadsIterB=1 readsPerIterB=3 */


/******************************************/
/* Unrolled Loop - End 1/2                */
/******************************************/


/* closeLoop loopL finalLoop=0 tailLoop=0 */
s_sub_u32 s[sgprLoopCounterL], s[sgprLoopCounterL], 1 // dec counterL
s_cmp_eq_i32 s[sgprLoopCounterL], 0x2              // counterL==2
s_cbranch_scc1 LoopEndL_oddexit_3                  // exit LoopL


/******************************************/
/* Unrolled Loop 2/2 - Begin              */
/******************************************/

label_0016: // LoopCopy2 


/* Begin Each Unroll: Check VGPR.checkin for INT8 LW */


	;; [unrolled: 1-line block ×3, first 2 shown]
/* iter 0 */

/*  grEndMfmaIndex:12, lwStartMfmaIndex:72, lwEndMfmaIndex:86  */
/*  numMfmaForLR:16, barrierMfmaIndex:91, LocalWritePerMfma:1.665 */
/*  mfmaIndex:0  */
s_waitcnt lgkmcnt(0)                               // lgkmcnt=0 vmcnt=-1wait for prior local read local write old=0, new=0 newLW=0 newLR=0
v_mfma_f32_16x16x16_f16 a[0+0:3+0], v[vgprValuB_X0_I0+0+0+0:vgprValuB_X0_I0+0+0+0+1], v[vgprValuA_X0_I0+0+0+0:vgprValuA_X0_I0+0+0+0+1], a[0:3]
/*  mfmaIndex:1  */
_ds_load_b64 v[vgprValuA_X1_I0+0:vgprValuA_X1_I0+0+1], v[vgprLocalReadAddrA] offset:32 // L -> Reg lro=16 swapByteOffset=0 ti=16 vIdx=0 rIdx=0 oIdx=0 buffer=1 iui=0

/* global read inc A loopL */
s_add_u32 s[sgprSrdA+0], s[sgprSrdA+0], s[sgprGlobalReadIncsA+0] // gra SRD += inc(lower)
v_mfma_f32_16x16x16_f16 a[4+0:7+0], v[vgprValuB_X0_I0+0+0+0:vgprValuB_X0_I0+0+0+0+1], v[vgprValuA_X0_I0+2+0+0:vgprValuA_X0_I0+2+0+0+1], a[4:7]
/*  mfmaIndex:2  */
_ds_load_b64 v[vgprValuB_X1_I0+0:vgprValuB_X1_I0+0+1], v[vgprLocalReadAddrB] offset:32 // L -> Reg lro=16 swapByteOffset=0 ti=64 vIdx=0 rIdx=0 oIdx=0 buffer=1 iui=0
s_addc_u32  s[sgprSrdA+1], s[sgprSrdA+1], 0        // gra SRD += inc(upper)
v_mfma_f32_16x16x16_f16 a[8+0:11+0], v[vgprValuB_X0_I0+0+0+0:vgprValuB_X0_I0+0+0+0+1], v[vgprValuA_X0_I0+4+0+0:vgprValuA_X0_I0+4+0+0+1], a[8:11]
/*  mfmaIndex:3  */
_ds_load_b64 v[vgprValuA_X1_I0+2:vgprValuA_X1_I0+2+1], v[vgprLocalReadAddrA] offset:2208 // L -> Reg lro=16 swapByteOffset=0 ti=16 vIdx=1 rIdx=0 oIdx=0 buffer=1 iui=0
s_sub_u32 s[sgprShadowLimitA+0], s[sgprShadowLimitA+0], s[sgprGlobalReadIncsA+0] // limit -= inc)
v_mfma_f32_16x16x16_f16 a[12+0:15+0], v[vgprValuB_X0_I0+0+0+0:vgprValuB_X0_I0+0+0+0+1], v[vgprValuA_X0_I0+6+0+0:vgprValuA_X0_I0+6+0+0+1], a[12:15]
/*  mfmaIndex:4  */
_ds_load_b64 v[vgprValuA_X1_I0+4:vgprValuA_X1_I0+4+1], v[vgprLocalReadAddrA] offset:4384 // L -> Reg lro=16 swapByteOffset=0 ti=16 vIdx=2 rIdx=0 oIdx=0 buffer=1 iui=0
s_subb_u32 s[sgprShadowLimitA+1], s[sgprShadowLimitA+1], 0 // limit -= inc)
v_mfma_f32_16x16x16_f16 a[16+0:19+0], v[vgprValuB_X0_I0+0+0+0:vgprValuB_X0_I0+0+0+0+1], v[vgprValuA_X0_I0+8+0+0:vgprValuA_X0_I0+8+0+0+1], a[16:19]
/*  mfmaIndex:5  */
_ds_load_b64 v[vgprValuA_X1_I0+6:vgprValuA_X1_I0+6+1], v[vgprLocalReadAddrA] offset:6560 // L -> Reg lro=16 swapByteOffset=0 ti=16 vIdx=3 rIdx=0 oIdx=0 buffer=1 iui=0
s_cmp_eq_u32 s[sgprShadowLimitA+1], 0              // are we within 2^32?
v_mfma_f32_16x16x16_f16 a[20+0:23+0], v[vgprValuB_X0_I0+0+0+0:vgprValuB_X0_I0+0+0+0+1], v[vgprValuA_X0_I0+10+0+0:vgprValuA_X0_I0+10+0+0+1], a[20:23]
/*  mfmaIndex:6  */
_ds_load_b64 v[vgprValuA_X1_I0+8:vgprValuA_X1_I0+8+1], v[vgprLocalReadAddrA] offset:8736 // L -> Reg lro=16 swapByteOffset=0 ti=16 vIdx=4 rIdx=0 oIdx=0 buffer=1 iui=0
s_cmov_b32 s[sgprSrdA+2], s[sgprShadowLimitA+0]    // Move shadow to real if we are within 2^32
v_mfma_f32_16x16x16_f16 a[24+0:27+0], v[vgprValuB_X0_I0+0+0+0:vgprValuB_X0_I0+0+0+0+1], v[vgprValuA_X0_I0+12+0+0:vgprValuA_X0_I0+12+0+0+1], a[24:27]
/*  mfmaIndex:7  */
_ds_load_b64 v[vgprValuA_X1_I0+10:vgprValuA_X1_I0+10+1], v[vgprLocalReadAddrA] offset:10912 // L -> Reg lro=16 swapByteOffset=0 ti=16 vIdx=5 rIdx=0 oIdx=0 buffer=1 iui=0

/* global read inc B loopL */
s_add_u32 s[sgprSrdB+0], s[sgprSrdB+0], s[sgprGlobalReadIncsB+0] // gra SRD += inc(lower)
v_mfma_f32_16x16x16_f16 a[28+0:31+0], v[vgprValuB_X0_I0+0+0+0:vgprValuB_X0_I0+0+0+0+1], v[vgprValuA_X0_I0+14+0+0:vgprValuA_X0_I0+14+0+0+1], a[28:31]
/*  mfmaIndex:8  */
_ds_load_b64 v[vgprValuA_X1_I0+12:vgprValuA_X1_I0+12+1], v[vgprLocalReadAddrA] offset:13088 // L -> Reg lro=16 swapByteOffset=0 ti=16 vIdx=6 rIdx=0 oIdx=0 buffer=1 iui=0
s_addc_u32  s[sgprSrdB+1], s[sgprSrdB+1], 0        // gra SRD += inc(upper)
v_mfma_f32_16x16x16_f16 a[32+0:35+0], v[vgprValuB_X0_I0+0+0+0:vgprValuB_X0_I0+0+0+0+1], v[vgprValuA_X0_I0+16+0+0:vgprValuA_X0_I0+16+0+0+1], a[32:35]
/*  mfmaIndex:9  */
_ds_load_b64 v[vgprValuA_X1_I0+14:vgprValuA_X1_I0+14+1], v[vgprLocalReadAddrA] offset:15264 // L -> Reg lro=16 swapByteOffset=0 ti=16 vIdx=7 rIdx=0 oIdx=0 buffer=1 iui=0
s_sub_u32 s[sgprShadowLimitB+0], s[sgprShadowLimitB+0], s[sgprGlobalReadIncsB+0] // limit -= inc)
v_mfma_f32_16x16x16_f16 a[68+0:71+0], v[vgprValuB_X0_I0+2+0+0:vgprValuB_X0_I0+2+0+0+1], v[vgprValuA_X0_I0+16+0+0:vgprValuA_X0_I0+16+0+0+1], a[68:71]
/*  mfmaIndex:10  */
_ds_load_b64 v[vgprValuA_X1_I0+16:vgprValuA_X1_I0+16+1], v[vgprLocalReadAddrA] offset:17440 // L -> Reg lro=16 swapByteOffset=0 ti=16 vIdx=8 rIdx=0 oIdx=0 buffer=1 iui=0
s_subb_u32 s[sgprShadowLimitB+1], s[sgprShadowLimitB+1], 0 // limit -= inc)
v_mfma_f32_16x16x16_f16 a[64+0:67+0], v[vgprValuB_X0_I0+2+0+0:vgprValuB_X0_I0+2+0+0+1], v[vgprValuA_X0_I0+14+0+0:vgprValuA_X0_I0+14+0+0+1], a[64:67]
/*  mfmaIndex:11  */
_ds_load_b64 v[vgprValuB_X1_I0+2:vgprValuB_X1_I0+2+1], v[vgprLocalReadAddrB] offset:9248 // L -> Reg lro=16 swapByteOffset=0 ti=64 vIdx=1 rIdx=0 oIdx=0 buffer=1 iui=0
s_cmp_eq_u32 s[sgprShadowLimitB+1], 0              // are we within 2^32?
v_mfma_f32_16x16x16_f16 a[60+0:63+0], v[vgprValuB_X0_I0+2+0+0:vgprValuB_X0_I0+2+0+0+1], v[vgprValuA_X0_I0+12+0+0:vgprValuA_X0_I0+12+0+0+1], a[60:63]
/*  mfmaIndex:12  */
_ds_load_b64 v[vgprValuB_X1_I0+4:vgprValuB_X1_I0+4+1], v[vgprLocalReadAddrB] offset:18464 // L -> Reg lro=16 swapByteOffset=0 ti=64 vIdx=2 rIdx=0 oIdx=0 buffer=1 iui=0
s_cmov_b32 s[sgprSrdB+2], s[sgprShadowLimitB+0]    // Move shadow to real if we are within 2^32
v_mfma_f32_16x16x16_f16 a[56+0:59+0], v[vgprValuB_X0_I0+2+0+0:vgprValuB_X0_I0+2+0+0+1], v[vgprValuA_X0_I0+10+0+0:vgprValuA_X0_I0+10+0+0+1], a[56:59]
/*  mfmaIndex:13  */
/* localReadsVacancy: latencyLeft 2 */
v_mfma_f32_16x16x16_f16 a[52+0:55+0], v[vgprValuB_X0_I0+2+0+0:vgprValuB_X0_I0+2+0+0+1], v[vgprValuA_X0_I0+8+0+0:vgprValuA_X0_I0+8+0+0+1], a[52:55]
/*  mfmaIndex:14  */
/* localReadsVacancy: latencyLeft 2 */
	;; [unrolled: 3-line block ×14, first 2 shown]
v_mfma_f32_16x16x16_f16 a[104+0:107+0], v[vgprValuB_X0_I0+4+0+0:vgprValuB_X0_I0+4+0+0+1], v[vgprValuA_X0_I0+16+0+0:vgprValuA_X0_I0+16+0+0+1], a[104:107]
/* numPrefetchIter=0 */
/* dataAtIterA=-1 numReadsIterA=1 skipReadsIterA=1 readsPerIterA=9 */
/* dataAtIterB=-1 numReadsIterB=1 skipReadsIterB=1 readsPerIterB=3 */


/* iter 1 */

/*  grEndMfmaIndex:12, lwStartMfmaIndex:72, lwEndMfmaIndex:86  */
/*  numMfmaForLR:16, barrierMfmaIndex:91, LocalWritePerMfma:1.665 */
/*  mfmaIndex:27  */
_ds_load_b64 v[vgprValuA_X0_I0+0:vgprValuA_X0_I0+0+1], v[vgprLocalReadAddrA] offset:64 // L -> Reg lro=32 swapByteOffset=0 ti=16 vIdx=0 rIdx=0 oIdx=0 buffer=0 iui=0
s_waitcnt lgkmcnt(1)                               // lgkmcnt=0 vmcnt=-1wait for prior local read local write old=0, new=1 newLW=0 newLR=1
v_mfma_f32_16x16x16_f16 a[0+0:3+0], v[vgprValuB_X1_I0+0+0+0:vgprValuB_X1_I0+0+0+0+1], v[vgprValuA_X1_I0+0+0+0:vgprValuA_X1_I0+0+0+0+1], a[0:3]
/*  mfmaIndex:28  */
_ds_load_b64 v[vgprValuB_X0_I0+0:vgprValuB_X0_I0+0+1], v[vgprLocalReadAddrB] offset:64 // L -> Reg lro=32 swapByteOffset=0 ti=64 vIdx=0 rIdx=0 oIdx=0 buffer=0 iui=0
v_mfma_f32_16x16x16_f16 a[4+0:7+0], v[vgprValuB_X1_I0+0+0+0:vgprValuB_X1_I0+0+0+0+1], v[vgprValuA_X1_I0+2+0+0:vgprValuA_X1_I0+2+0+0+1], a[4:7]
/*  mfmaIndex:29  */
_ds_load_b64 v[vgprValuA_X0_I0+2:vgprValuA_X0_I0+2+1], v[vgprLocalReadAddrA] offset:2240 // L -> Reg lro=32 swapByteOffset=0 ti=16 vIdx=1 rIdx=0 oIdx=0 buffer=0 iui=0
v_mfma_f32_16x16x16_f16 a[8+0:11+0], v[vgprValuB_X1_I0+0+0+0:vgprValuB_X1_I0+0+0+0+1], v[vgprValuA_X1_I0+4+0+0:vgprValuA_X1_I0+4+0+0+1], a[8:11]
/*  mfmaIndex:30  */
_ds_load_b64 v[vgprValuA_X0_I0+4:vgprValuA_X0_I0+4+1], v[vgprLocalReadAddrA] offset:4416 // L -> Reg lro=32 swapByteOffset=0 ti=16 vIdx=2 rIdx=0 oIdx=0 buffer=0 iui=0
v_mfma_f32_16x16x16_f16 a[12+0:15+0], v[vgprValuB_X1_I0+0+0+0:vgprValuB_X1_I0+0+0+0+1], v[vgprValuA_X1_I0+6+0+0:vgprValuA_X1_I0+6+0+0+1], a[12:15]
/*  mfmaIndex:31  */
_ds_load_b64 v[vgprValuA_X0_I0+6:vgprValuA_X0_I0+6+1], v[vgprLocalReadAddrA] offset:6592 // L -> Reg lro=32 swapByteOffset=0 ti=16 vIdx=3 rIdx=0 oIdx=0 buffer=0 iui=0
v_mfma_f32_16x16x16_f16 a[16+0:19+0], v[vgprValuB_X1_I0+0+0+0:vgprValuB_X1_I0+0+0+0+1], v[vgprValuA_X1_I0+8+0+0:vgprValuA_X1_I0+8+0+0+1], a[16:19]
/*  mfmaIndex:32  */
_ds_load_b64 v[vgprValuA_X0_I0+8:vgprValuA_X0_I0+8+1], v[vgprLocalReadAddrA] offset:8768 // L -> Reg lro=32 swapByteOffset=0 ti=16 vIdx=4 rIdx=0 oIdx=0 buffer=0 iui=0
v_mfma_f32_16x16x16_f16 a[20+0:23+0], v[vgprValuB_X1_I0+0+0+0:vgprValuB_X1_I0+0+0+0+1], v[vgprValuA_X1_I0+10+0+0:vgprValuA_X1_I0+10+0+0+1], a[20:23]
/*  mfmaIndex:33  */
_ds_load_b64 v[vgprValuA_X0_I0+10:vgprValuA_X0_I0+10+1], v[vgprLocalReadAddrA] offset:10944 // L -> Reg lro=32 swapByteOffset=0 ti=16 vIdx=5 rIdx=0 oIdx=0 buffer=0 iui=0
v_mfma_f32_16x16x16_f16 a[24+0:27+0], v[vgprValuB_X1_I0+0+0+0:vgprValuB_X1_I0+0+0+0+1], v[vgprValuA_X1_I0+12+0+0:vgprValuA_X1_I0+12+0+0+1], a[24:27]
/*  mfmaIndex:34  */
_ds_load_b64 v[vgprValuA_X0_I0+12:vgprValuA_X0_I0+12+1], v[vgprLocalReadAddrA] offset:13120 // L -> Reg lro=32 swapByteOffset=0 ti=16 vIdx=6 rIdx=0 oIdx=0 buffer=0 iui=0
v_mfma_f32_16x16x16_f16 a[28+0:31+0], v[vgprValuB_X1_I0+0+0+0:vgprValuB_X1_I0+0+0+0+1], v[vgprValuA_X1_I0+14+0+0:vgprValuA_X1_I0+14+0+0+1], a[28:31]
/*  mfmaIndex:35  */
_ds_load_b64 v[vgprValuA_X0_I0+14:vgprValuA_X0_I0+14+1], v[vgprLocalReadAddrA] offset:15296 // L -> Reg lro=32 swapByteOffset=0 ti=16 vIdx=7 rIdx=0 oIdx=0 buffer=0 iui=0
v_mfma_f32_16x16x16_f16 a[32+0:35+0], v[vgprValuB_X1_I0+0+0+0:vgprValuB_X1_I0+0+0+0+1], v[vgprValuA_X1_I0+16+0+0:vgprValuA_X1_I0+16+0+0+1], a[32:35]
/*  mfmaIndex:36  */
_ds_load_b64 v[vgprValuA_X0_I0+16:vgprValuA_X0_I0+16+1], v[vgprLocalReadAddrA] offset:17472 // L -> Reg lro=32 swapByteOffset=0 ti=16 vIdx=8 rIdx=0 oIdx=0 buffer=0 iui=0
v_mfma_f32_16x16x16_f16 a[68+0:71+0], v[vgprValuB_X1_I0+2+0+0:vgprValuB_X1_I0+2+0+0+1], v[vgprValuA_X1_I0+16+0+0:vgprValuA_X1_I0+16+0+0+1], a[68:71]
/*  mfmaIndex:37  */
_ds_load_b64 v[vgprValuB_X0_I0+2:vgprValuB_X0_I0+2+1], v[vgprLocalReadAddrB] offset:9280 // L -> Reg lro=32 swapByteOffset=0 ti=64 vIdx=1 rIdx=0 oIdx=0 buffer=0 iui=0
v_mfma_f32_16x16x16_f16 a[64+0:67+0], v[vgprValuB_X1_I0+2+0+0:vgprValuB_X1_I0+2+0+0+1], v[vgprValuA_X1_I0+14+0+0:vgprValuA_X1_I0+14+0+0+1], a[64:67]
/*  mfmaIndex:38  */
_ds_load_b64 v[vgprValuB_X0_I0+4:vgprValuB_X0_I0+4+1], v[vgprLocalReadAddrB] offset:18496 // L -> Reg lro=32 swapByteOffset=0 ti=64 vIdx=2 rIdx=0 oIdx=0 buffer=0 iui=0
v_mfma_f32_16x16x16_f16 a[60+0:63+0], v[vgprValuB_X1_I0+2+0+0:vgprValuB_X1_I0+2+0+0+1], v[vgprValuA_X1_I0+12+0+0:vgprValuA_X1_I0+12+0+0+1], a[60:63]
/*  mfmaIndex:39  */
/* localReadsVacancy: latencyLeft 2 */
v_mfma_f32_16x16x16_f16 a[56+0:59+0], v[vgprValuB_X1_I0+2+0+0:vgprValuB_X1_I0+2+0+0+1], v[vgprValuA_X1_I0+10+0+0:vgprValuA_X1_I0+10+0+0+1], a[56:59]
/*  mfmaIndex:40  */
/* localReadsVacancy: latencyLeft 2 */
	;; [unrolled: 3-line block ×15, first 2 shown]
v_mfma_f32_16x16x16_f16 a[104+0:107+0], v[vgprValuB_X1_I0+4+0+0:vgprValuB_X1_I0+4+0+0+1], v[vgprValuA_X1_I0+16+0+0:vgprValuA_X1_I0+16+0+0+1], a[104:107]
/* numPrefetchIter=0 */
/* dataAtIterA=0 numReadsIterA=2 skipReadsIterA=1 readsPerIterA=9 */
/* dataAtIterB=0 numReadsIterB=2 skipReadsIterB=1 readsPerIterB=3 */


/* iter 2 (reset local read pointers iteration)  (swap local read pointers iteration)  */

/*  grEndMfmaIndex:12, lwStartMfmaIndex:72, lwEndMfmaIndex:86  */
/*  numMfmaForLR:16, barrierMfmaIndex:91, LocalWritePerMfma:1.665 */
/*  mfmaIndex:54  */
_ds_load_b64 v[vgprValuA_X1_I0+0:vgprValuA_X1_I0+0+1], v[vgprLocalReadAddrA] offset:96 // L -> Reg lro=48 swapByteOffset=0 ti=16 vIdx=0 rIdx=0 oIdx=0 buffer=1 iui=0
s_waitcnt lgkmcnt(1)                               // lgkmcnt=0 vmcnt=-1wait for prior local read local write old=0, new=1 newLW=0 newLR=1
v_mfma_f32_16x16x16_f16 a[0+0:3+0], v[vgprValuB_X0_I0+0+0+0:vgprValuB_X0_I0+0+0+0+1], v[vgprValuA_X0_I0+0+0+0:vgprValuA_X0_I0+0+0+0+1], a[0:3]
/*  mfmaIndex:55  */
_ds_load_b64 v[vgprValuB_X1_I0+0:vgprValuB_X1_I0+0+1], v[vgprLocalReadAddrB] offset:96 // L -> Reg lro=48 swapByteOffset=0 ti=64 vIdx=0 rIdx=0 oIdx=0 buffer=1 iui=0
v_mfma_f32_16x16x16_f16 a[4+0:7+0], v[vgprValuB_X0_I0+0+0+0:vgprValuB_X0_I0+0+0+0+1], v[vgprValuA_X0_I0+2+0+0:vgprValuA_X0_I0+2+0+0+1], a[4:7]
/*  mfmaIndex:56  */
_ds_load_b64 v[vgprValuA_X1_I0+2:vgprValuA_X1_I0+2+1], v[vgprLocalReadAddrA] offset:2272 // L -> Reg lro=48 swapByteOffset=0 ti=16 vIdx=1 rIdx=0 oIdx=0 buffer=1 iui=0
v_mfma_f32_16x16x16_f16 a[8+0:11+0], v[vgprValuB_X0_I0+0+0+0:vgprValuB_X0_I0+0+0+0+1], v[vgprValuA_X0_I0+4+0+0:vgprValuA_X0_I0+4+0+0+1], a[8:11]
/*  mfmaIndex:57  */
_ds_load_b64 v[vgprValuA_X1_I0+4:vgprValuA_X1_I0+4+1], v[vgprLocalReadAddrA] offset:4448 // L -> Reg lro=48 swapByteOffset=0 ti=16 vIdx=2 rIdx=0 oIdx=0 buffer=1 iui=0
v_mfma_f32_16x16x16_f16 a[12+0:15+0], v[vgprValuB_X0_I0+0+0+0:vgprValuB_X0_I0+0+0+0+1], v[vgprValuA_X0_I0+6+0+0:vgprValuA_X0_I0+6+0+0+1], a[12:15]
/*  mfmaIndex:58  */
_ds_load_b64 v[vgprValuA_X1_I0+6:vgprValuA_X1_I0+6+1], v[vgprLocalReadAddrA] offset:6624 // L -> Reg lro=48 swapByteOffset=0 ti=16 vIdx=3 rIdx=0 oIdx=0 buffer=1 iui=0
v_mfma_f32_16x16x16_f16 a[16+0:19+0], v[vgprValuB_X0_I0+0+0+0:vgprValuB_X0_I0+0+0+0+1], v[vgprValuA_X0_I0+8+0+0:vgprValuA_X0_I0+8+0+0+1], a[16:19]
/*  mfmaIndex:59  */
_ds_load_b64 v[vgprValuA_X1_I0+8:vgprValuA_X1_I0+8+1], v[vgprLocalReadAddrA] offset:8800 // L -> Reg lro=48 swapByteOffset=0 ti=16 vIdx=4 rIdx=0 oIdx=0 buffer=1 iui=0
v_mfma_f32_16x16x16_f16 a[20+0:23+0], v[vgprValuB_X0_I0+0+0+0:vgprValuB_X0_I0+0+0+0+1], v[vgprValuA_X0_I0+10+0+0:vgprValuA_X0_I0+10+0+0+1], a[20:23]
/*  mfmaIndex:60  */
_ds_load_b64 v[vgprValuA_X1_I0+10:vgprValuA_X1_I0+10+1], v[vgprLocalReadAddrA] offset:10976 // L -> Reg lro=48 swapByteOffset=0 ti=16 vIdx=5 rIdx=0 oIdx=0 buffer=1 iui=0
v_mfma_f32_16x16x16_f16 a[24+0:27+0], v[vgprValuB_X0_I0+0+0+0:vgprValuB_X0_I0+0+0+0+1], v[vgprValuA_X0_I0+12+0+0:vgprValuA_X0_I0+12+0+0+1], a[24:27]
/*  mfmaIndex:61  */
_ds_load_b64 v[vgprValuA_X1_I0+12:vgprValuA_X1_I0+12+1], v[vgprLocalReadAddrA] offset:13152 // L -> Reg lro=48 swapByteOffset=0 ti=16 vIdx=6 rIdx=0 oIdx=0 buffer=1 iui=0
v_mfma_f32_16x16x16_f16 a[28+0:31+0], v[vgprValuB_X0_I0+0+0+0:vgprValuB_X0_I0+0+0+0+1], v[vgprValuA_X0_I0+14+0+0:vgprValuA_X0_I0+14+0+0+1], a[28:31]
/*  mfmaIndex:62  */
_ds_load_b64 v[vgprValuA_X1_I0+14:vgprValuA_X1_I0+14+1], v[vgprLocalReadAddrA] offset:15328 // L -> Reg lro=48 swapByteOffset=0 ti=16 vIdx=7 rIdx=0 oIdx=0 buffer=1 iui=0
v_mfma_f32_16x16x16_f16 a[32+0:35+0], v[vgprValuB_X0_I0+0+0+0:vgprValuB_X0_I0+0+0+0+1], v[vgprValuA_X0_I0+16+0+0:vgprValuA_X0_I0+16+0+0+1], a[32:35]
/*  mfmaIndex:63  */
_ds_load_b64 v[vgprValuA_X1_I0+16:vgprValuA_X1_I0+16+1], v[vgprLocalReadAddrA] offset:17504 // L -> Reg lro=48 swapByteOffset=0 ti=16 vIdx=8 rIdx=0 oIdx=0 buffer=1 iui=0
v_mfma_f32_16x16x16_f16 a[68+0:71+0], v[vgprValuB_X0_I0+2+0+0:vgprValuB_X0_I0+2+0+0+1], v[vgprValuA_X0_I0+16+0+0:vgprValuA_X0_I0+16+0+0+1], a[68:71]
/*  mfmaIndex:64  */
_ds_load_b64 v[vgprValuB_X1_I0+2:vgprValuB_X1_I0+2+1], v[vgprLocalReadAddrB] offset:9312 // L -> Reg lro=48 swapByteOffset=0 ti=64 vIdx=1 rIdx=0 oIdx=0 buffer=1 iui=0
v_mfma_f32_16x16x16_f16 a[64+0:67+0], v[vgprValuB_X0_I0+2+0+0:vgprValuB_X0_I0+2+0+0+1], v[vgprValuA_X0_I0+14+0+0:vgprValuA_X0_I0+14+0+0+1], a[64:67]
/*  mfmaIndex:65  */
_ds_load_b64 v[vgprValuB_X1_I0+4:vgprValuB_X1_I0+4+1], v[vgprLocalReadAddrB] offset:18528 // L -> Reg lro=48 swapByteOffset=0 ti=64 vIdx=2 rIdx=0 oIdx=0 buffer=1 iui=0
v_mfma_f32_16x16x16_f16 a[60+0:63+0], v[vgprValuB_X0_I0+2+0+0:vgprValuB_X0_I0+2+0+0+1], v[vgprValuA_X0_I0+12+0+0:vgprValuA_X0_I0+12+0+0+1], a[60:63]
/*  mfmaIndex:66  */
/* localReadsVacancy: latencyLeft 2 */
v_mfma_f32_16x16x16_f16 a[56+0:59+0], v[vgprValuB_X0_I0+2+0+0:vgprValuB_X0_I0+2+0+0+1], v[vgprValuA_X0_I0+10+0+0:vgprValuA_X0_I0+10+0+0+1], a[56:59]
/*  mfmaIndex:67  */
/* localReadsVacancy: latencyLeft 2 */
	;; [unrolled: 3-line block ×6, first 2 shown]
/* 1 LDS buffer: read-sync-write */
s_waitcnt lgkmcnt(0)                               // 
s_barrier                                          // 
v_mfma_f32_16x16x16_f16 a[36+0:39+0], v[vgprValuB_X0_I0+2+0+0:vgprValuB_X0_I0+2+0+0+1], v[vgprValuA_X0_I0+0+0+0:vgprValuA_X0_I0+0+0+0+1], a[36:39]
/*  mfmaIndex:72  */
s_setprio 3                                        // store optimization
/* sched write - iter 2 writesPerItem=1 */
s_waitcnt vmcnt(0)                                 // lgkmcnt=-1 vmcnt=0wait for global read before writing to local
_ds_store_b32 v[vgprLocalWriteAddrA], v[vgprG2LA+0] offset:0 // lwoA_0_0_0_0 = (0*LSCA)*(MT0I+PAD) + (0*LSPA) = 0
_buffer_load_b32 v[vgprG2LA+0], v[vgprGlobalReadOffsetA+0], s[sgprSrdA:sgprSrdA+3], 0, offen offset:0 // G -> Reg 0_0_0_0
/* sched write - iter 2 writesPerItem=1 */
s_waitcnt vmcnt(0)                                 // lgkmcnt=-1 vmcnt=0wait for global read before writing to local
_ds_store_b32 v[vgprLocalWriteAddrA], v[vgprG2LA+1] offset:1088 // lwoA_0_0_1_0 = (0*LSCA)*(MT0I+PAD) + (1*LSPA) = 1088
v_mfma_f32_16x16x16_f16 a[72+0:75+0], v[vgprValuB_X0_I0+4+0+0:vgprValuB_X0_I0+4+0+0+1], v[vgprValuA_X0_I0+0+0+0:vgprValuA_X0_I0+0+0+0+1], a[72:75]
/*  mfmaIndex:73  */
_buffer_load_b32 v[vgprG2LA+1], v[vgprGlobalReadOffsetA+0], s[sgprSrdA:sgprSrdA+3], s[sgprScalarGlobalReadOffsetA+0], offen offset:0 // G -> Reg 0_0_1_0
/* sched write - iter 2 writesPerItem=1 */
s_waitcnt vmcnt(0)                                 // lgkmcnt=-1 vmcnt=0wait for global read before writing to local
_ds_store_b32 v[vgprLocalWriteAddrA], v[vgprG2LA+2] offset:2176 // lwoA_0_0_2_0 = (0*LSCA)*(MT0I+PAD) + (2*LSPA) = 2176
_buffer_load_b32 v[vgprG2LA+2], v[vgprGlobalReadOffsetA+0], s[sgprSrdA:sgprSrdA+3], s[sgprScalarGlobalReadOffsetA+1], offen offset:0 // G -> Reg 0_0_2_0
/* sched write - iter 2 writesPerItem=1 */
s_waitcnt vmcnt(0)                                 // lgkmcnt=-1 vmcnt=0wait for global read before writing to local
_ds_store_b32 v[vgprLocalWriteAddrA], v[vgprG2LA+3] offset:3264 // lwoA_0_0_3_0 = (0*LSCA)*(MT0I+PAD) + (3*LSPA) = 3264
v_mfma_f32_16x16x16_f16 a[76+0:79+0], v[vgprValuB_X0_I0+4+0+0:vgprValuB_X0_I0+4+0+0+1], v[vgprValuA_X0_I0+2+0+0:vgprValuA_X0_I0+2+0+0+1], a[76:79]
/*  mfmaIndex:74  */
_buffer_load_b32 v[vgprG2LA+3], v[vgprGlobalReadOffsetA+0], s[sgprSrdA:sgprSrdA+3], s[sgprScalarGlobalReadOffsetA+2], offen offset:0 // G -> Reg 0_0_3_0
/* sched write - iter 2 writesPerItem=1 */
s_waitcnt vmcnt(0)                                 // lgkmcnt=-1 vmcnt=0wait for global read before writing to local
_ds_store_b32 v[vgprLocalWriteAddrA], v[vgprG2LA+4] offset:4352 // lwoA_0_0_4_0 = (0*LSCA)*(MT0I+PAD) + (4*LSPA) = 4352
_buffer_load_b32 v[vgprG2LA+4], v[vgprGlobalReadOffsetA+0], s[sgprSrdA:sgprSrdA+3], s[sgprScalarGlobalReadOffsetA+3], offen offset:0 // G -> Reg 0_0_4_0
v_mfma_f32_16x16x16_f16 a[80+0:83+0], v[vgprValuB_X0_I0+4+0+0:vgprValuB_X0_I0+4+0+0+1], v[vgprValuA_X0_I0+4+0+0:vgprValuA_X0_I0+4+0+0+1], a[80:83]
/*  mfmaIndex:75  */
/* sched write - iter 2 writesPerItem=1 */
s_waitcnt vmcnt(0)                                 // lgkmcnt=-1 vmcnt=0wait for global read before writing to local
_ds_store_b32 v[vgprLocalWriteAddrA], v[vgprG2LA+5] offset:5440 // lwoA_0_0_5_0 = (0*LSCA)*(MT0I+PAD) + (5*LSPA) = 5440
_buffer_load_b32 v[vgprG2LA+5], v[vgprGlobalReadOffsetA+0], s[sgprSrdA:sgprSrdA+3], s[sgprScalarGlobalReadOffsetA+4], offen offset:0 // G -> Reg 0_0_5_0
/* sched write - iter 2 writesPerItem=1 */
s_waitcnt vmcnt(0)                                 // lgkmcnt=-1 vmcnt=0wait for global read before writing to local
_ds_store_b32 v[vgprLocalWriteAddrA], v[vgprG2LA+6] offset:6528 // lwoA_0_0_6_0 = (0*LSCA)*(MT0I+PAD) + (6*LSPA) = 6528
v_mfma_f32_16x16x16_f16 a[84+0:87+0], v[vgprValuB_X0_I0+4+0+0:vgprValuB_X0_I0+4+0+0+1], v[vgprValuA_X0_I0+6+0+0:vgprValuA_X0_I0+6+0+0+1], a[84:87]
/*  mfmaIndex:76  */
_buffer_load_b32 v[vgprG2LA+6], v[vgprGlobalReadOffsetA+0], s[sgprSrdA:sgprSrdA+3], s[sgprScalarGlobalReadOffsetA+5], offen offset:0 // G -> Reg 0_0_6_0
/* sched write - iter 2 writesPerItem=1 */
s_waitcnt vmcnt(0)                                 // lgkmcnt=-1 vmcnt=0wait for global read before writing to local
_ds_store_b32 v[vgprLocalWriteAddrA], v[vgprG2LA+7] offset:7616 // lwoA_0_0_7_0 = (0*LSCA)*(MT0I+PAD) + (7*LSPA) = 7616
_buffer_load_b32 v[vgprG2LA+7], v[vgprGlobalReadOffsetA+0], s[sgprSrdA:sgprSrdA+3], s[sgprScalarGlobalReadOffsetA+6], offen offset:0 // G -> Reg 0_0_7_0
/* sched write - iter 2 writesPerItem=1 */
s_waitcnt vmcnt(0)                                 // lgkmcnt=-1 vmcnt=0wait for global read before writing to local
_ds_store_b32 v[vgprLocalWriteAddrA], v[vgprG2LA+8] offset:8704 // lwoA_0_0_8_0 = (0*LSCA)*(MT0I+PAD) + (8*LSPA) = 8704
v_mfma_f32_16x16x16_f16 a[88+0:91+0], v[vgprValuB_X0_I0+4+0+0:vgprValuB_X0_I0+4+0+0+1], v[vgprValuA_X0_I0+8+0+0:vgprValuA_X0_I0+8+0+0+1], a[88:91]
/*  mfmaIndex:77  */
_buffer_load_b32 v[vgprG2LA+8], v[vgprGlobalReadOffsetA+0], s[sgprSrdA:sgprSrdA+3], s[sgprScalarGlobalReadOffsetA+7], offen offset:0 // G -> Reg 0_0_8_0
/* sched write - iter 2 writesPerItem=1 */
s_waitcnt vmcnt(0)                                 // lgkmcnt=-1 vmcnt=0wait for global read before writing to local
_ds_store_b32 v[vgprLocalWriteAddrA], v[vgprG2LA+9] offset:9792 // lwoA_0_0_9_0 = (0*LSCA)*(MT0I+PAD) + (9*LSPA) = 9792
_buffer_load_b32 v[vgprG2LA+9], v[vgprGlobalReadOffsetA+0], s[sgprSrdA:sgprSrdA+3], s[sgprScalarGlobalReadOffsetA+8], offen offset:0 // G -> Reg 0_0_9_0
v_mfma_f32_16x16x16_f16 a[92+0:95+0], v[vgprValuB_X0_I0+4+0+0:vgprValuB_X0_I0+4+0+0+1], v[vgprValuA_X0_I0+10+0+0:vgprValuA_X0_I0+10+0+0+1], a[92:95]
/*  mfmaIndex:78  */
/* sched write - iter 2 writesPerItem=1 */
s_waitcnt vmcnt(0)                                 // lgkmcnt=-1 vmcnt=0wait for global read before writing to local
_ds_store_b32 v[vgprLocalWriteAddrA], v[vgprG2LA+10] offset:10880 // lwoA_0_0_10_0 = (0*LSCA)*(MT0I+PAD) + (10*LSPA) = 10880
_buffer_load_b32 v[vgprG2LA+10], v[vgprGlobalReadOffsetA+0], s[sgprSrdA:sgprSrdA+3], s[sgprScalarGlobalReadOffsetA+9], offen offset:0 // G -> Reg 0_0_10_0
/* sched write - iter 2 writesPerItem=1 */
s_waitcnt vmcnt(0)                                 // lgkmcnt=-1 vmcnt=0wait for global read before writing to local
_ds_store_b32 v[vgprLocalWriteAddrA], v[vgprG2LA+11] offset:11968 // lwoA_0_0_11_0 = (0*LSCA)*(MT0I+PAD) + (11*LSPA) = 11968
v_mfma_f32_16x16x16_f16 a[96+0:99+0], v[vgprValuB_X0_I0+4+0+0:vgprValuB_X0_I0+4+0+0+1], v[vgprValuA_X0_I0+12+0+0:vgprValuA_X0_I0+12+0+0+1], a[96:99]
/*  mfmaIndex:79  */
_buffer_load_b32 v[vgprG2LA+11], v[vgprGlobalReadOffsetA+0], s[sgprSrdA:sgprSrdA+3], s[sgprScalarGlobalReadOffsetA+10], offen offset:0 // G -> Reg 0_0_11_0
/* sched write - iter 2 writesPerItem=1 */
s_waitcnt vmcnt(0)                                 // lgkmcnt=-1 vmcnt=0wait for global read before writing to local
_ds_store_b32 v[vgprLocalWriteAddrA], v[vgprG2LA+12] offset:13056 // lwoA_0_0_12_0 = (0*LSCA)*(MT0I+PAD) + (12*LSPA) = 13056
_buffer_load_b32 v[vgprG2LA+12], v[vgprGlobalReadOffsetA+0], s[sgprSrdA:sgprSrdA+3], s[sgprScalarGlobalReadOffsetA+11], offen offset:0 // G -> Reg 0_0_12_0
/* sched write - iter 2 writesPerItem=1 */
s_waitcnt vmcnt(0)                                 // lgkmcnt=-1 vmcnt=0wait for global read before writing to local
_ds_store_b32 v[vgprLocalWriteAddrA], v[vgprG2LA+13] offset:14144 // lwoA_0_0_13_0 = (0*LSCA)*(MT0I+PAD) + (13*LSPA) = 14144
v_mfma_f32_16x16x16_f16 a[100+0:103+0], v[vgprValuB_X0_I0+4+0+0:vgprValuB_X0_I0+4+0+0+1], v[vgprValuA_X0_I0+14+0+0:vgprValuA_X0_I0+14+0+0+1], a[100:103]
/*  mfmaIndex:80  */
_buffer_load_b32 v[vgprG2LA+13], v[vgprGlobalReadOffsetA+0], s[sgprSrdA:sgprSrdA+3], s[sgprScalarGlobalReadOffsetA+12], offen offset:0 // G -> Reg 0_0_13_0
/* sched write - iter 2 writesPerItem=1 */
s_waitcnt vmcnt(0)                                 // lgkmcnt=-1 vmcnt=0wait for global read before writing to local
_ds_store_b32 v[vgprLocalWriteAddrA], v[vgprG2LA+14] offset:15232 // lwoA_0_0_14_0 = (0*LSCA)*(MT0I+PAD) + (14*LSPA) = 15232
_buffer_load_b32 v[vgprG2LA+14], v[vgprGlobalReadOffsetA+0], s[sgprSrdA:sgprSrdA+3], s[sgprScalarGlobalReadOffsetA+13], offen offset:0 // G -> Reg 0_0_14_0

/* local read swap offsets a */

/* local read swap offsets b */

/* local read init pointers a */

/* localReadInitPointers */

/* local read init pointers b */

/* localReadInitPointers */
v_mfma_f32_16x16x16_f16 a[104+0:107+0], v[vgprValuB_X0_I0+4+0+0:vgprValuB_X0_I0+4+0+0+1], v[vgprValuA_X0_I0+16+0+0:vgprValuA_X0_I0+16+0+0+1], a[104:107]
/* numPrefetchIter=0 */
/* dataAtIterA=1 numReadsIterA=3 skipReadsIterA=1 readsPerIterA=9 */
/* dataAtIterB=1 numReadsIterB=3 skipReadsIterB=1 readsPerIterB=3 */


/* iter 3 (swap and reset local write pointers iteration)  */

/*  grEndMfmaIndex:12, lwStartMfmaIndex:72, lwEndMfmaIndex:86  */
/*  numMfmaForLR:16, barrierMfmaIndex:91, LocalWritePerMfma:1.665 */
/*  mfmaIndex:81  */
/* sched write - iter 3 writesPerItem=1 */
s_waitcnt vmcnt(0)                                 // lgkmcnt=-1 vmcnt=0wait for global read before writing to local
_ds_store_b32 v[vgprLocalWriteAddrA], v[vgprG2LA+15] offset:16320 // lwoA_0_0_15_0 = (0*LSCA)*(MT0I+PAD) + (15*LSPA) = 16320
_buffer_load_b32 v[vgprG2LA+15], v[vgprGlobalReadOffsetA+0], s[sgprSrdA:sgprSrdA+3], s[sgprScalarGlobalReadOffsetA+14], offen offset:0 // G -> Reg 0_0_15_0
/* sched write - iter 3 writesPerItem=1 */
s_waitcnt vmcnt(0)                                 // lgkmcnt=-1 vmcnt=0wait for global read before writing to local
_ds_store_b32 v[vgprLocalWriteAddrA], v[vgprG2LA+16] offset:17408 // lwoA_0_0_16_0 = (0*LSCA)*(MT0I+PAD) + (16*LSPA) = 17408
s_waitcnt lgkmcnt(15)                              // lgkmcnt=0 vmcnt=-1wait for prior local read local write old=0, new=17 newLW=17 newLR=0
v_mfma_f32_16x16x16_f16 a[0+0:3+0], v[vgprValuB_X1_I0+0+0+0:vgprValuB_X1_I0+0+0+0+1], v[vgprValuA_X1_I0+0+0+0:vgprValuA_X1_I0+0+0+0+1], a[0:3]
/*  mfmaIndex:82  */
_buffer_load_b32 v[vgprG2LA+16], v[vgprGlobalReadOffsetA+0], s[sgprSrdA:sgprSrdA+3], s[sgprScalarGlobalReadOffsetA+15], offen offset:0 // G -> Reg 0_0_16_0
/* sched write - iter 3 writesPerItem=1 */
s_waitcnt vmcnt(0)                                 // lgkmcnt=-1 vmcnt=0wait for global read before writing to local
_ds_store_b32 v[vgprLocalWriteAddrA], v[vgprG2LA+17] offset:18496 // lwoA_0_0_17_0 = (0*LSCA)*(MT0I+PAD) + (17*LSPA) = 18496
_buffer_load_b32 v[vgprG2LA+17], v[vgprGlobalReadOffsetA+0], s[sgprSrdA:sgprSrdA+3], s[sgprScalarGlobalReadOffsetA+16], offen offset:0 // G -> Reg 0_0_17_0
/* sched write - iter 3 writesPerItem=1 */
s_waitcnt vmcnt(0)                                 // lgkmcnt=-1 vmcnt=0wait for global read before writing to local
_ds_store_b128 v[vgprLocalWriteAddrB], v[vgprG2LB+0:vgprG2LB+0+3] offset:0 // lwoB_0_0_0_0 = (0*LSCB)*(MT1J+PAD) + (0*LSPB) = 0
v_mfma_f32_16x16x16_f16 a[4+0:7+0], v[vgprValuB_X1_I0+0+0+0:vgprValuB_X1_I0+0+0+0+1], v[vgprValuA_X1_I0+2+0+0:vgprValuA_X1_I0+2+0+0+1], a[4:7]
/*  mfmaIndex:83  */
_buffer_load_b128 v[vgprG2LB+0:vgprG2LB+0+3], v[vgprGlobalReadOffsetB+0], s[sgprSrdB:sgprSrdB+3], 0, offen offset:0 // G -> Reg 0_0_0_0
/* sched write - iter 3 writesPerItem=1 */
s_waitcnt vmcnt(0)                                 // lgkmcnt=-1 vmcnt=0wait for global read before writing to local
_ds_store_b128 v[vgprLocalWriteAddrB], v[vgprG2LB+4:vgprG2LB+4+3] offset:4608 // lwoB_0_0_1_0 = (0*LSCB)*(MT1J+PAD) + (1*LSPB) = 4608
_buffer_load_b128 v[vgprG2LB+4:vgprG2LB+4+3], v[vgprGlobalReadOffsetB+0], s[sgprSrdB:sgprSrdB+3], s[sgprScalarGlobalReadOffsetB+0], offen offset:0 // G -> Reg 0_0_1_0
v_mfma_f32_16x16x16_f16 a[8+0:11+0], v[vgprValuB_X1_I0+0+0+0:vgprValuB_X1_I0+0+0+0+1], v[vgprValuA_X1_I0+4+0+0:vgprValuA_X1_I0+4+0+0+1], a[8:11]
/*  mfmaIndex:84  */
/* sched write - iter 3 writesPerItem=1 */
s_waitcnt vmcnt(0)                                 // lgkmcnt=-1 vmcnt=0wait for global read before writing to local
_ds_store_b128 v[vgprLocalWriteAddrB], v[vgprG2LB+8:vgprG2LB+8+3] offset:9216 // lwoB_0_0_2_0 = (0*LSCB)*(MT1J+PAD) + (2*LSPB) = 9216
_buffer_load_b128 v[vgprG2LB+8:vgprG2LB+8+3], v[vgprGlobalReadOffsetB+0], s[sgprSrdB:sgprSrdB+3], s[sgprScalarGlobalReadOffsetB+1], offen offset:0 // G -> Reg 0_0_2_0
/* sched write - iter 3 writesPerItem=1 */
s_waitcnt vmcnt(0)                                 // lgkmcnt=-1 vmcnt=0wait for global read before writing to local
_ds_store_b128 v[vgprLocalWriteAddrB], v[vgprG2LB+12:vgprG2LB+12+3] offset:13824 // lwoB_0_0_3_0 = (0*LSCB)*(MT1J+PAD) + (3*LSPB) = 13824
v_mfma_f32_16x16x16_f16 a[12+0:15+0], v[vgprValuB_X1_I0+0+0+0:vgprValuB_X1_I0+0+0+0+1], v[vgprValuA_X1_I0+6+0+0:vgprValuA_X1_I0+6+0+0+1], a[12:15]
/*  mfmaIndex:85  */
_buffer_load_b128 v[vgprG2LB+12:vgprG2LB+12+3], v[vgprGlobalReadOffsetB+0], s[sgprSrdB:sgprSrdB+3], s[sgprScalarGlobalReadOffsetB+2], offen offset:0 // G -> Reg 0_0_3_0
/* sched write - iter 3 writesPerItem=1 */
s_waitcnt vmcnt(0)                                 // lgkmcnt=-1 vmcnt=0wait for global read before writing to local
_ds_store_b128 v[vgprLocalWriteAddrB], v[vgprG2LB+16:vgprG2LB+16+3] offset:18432 // lwoB_0_0_4_0 = (0*LSCB)*(MT1J+PAD) + (4*LSPB) = 18432
_buffer_load_b128 v[vgprG2LB+16:vgprG2LB+16+3], v[vgprGlobalReadOffsetB+0], s[sgprSrdB:sgprSrdB+3], s[sgprScalarGlobalReadOffsetB+3], offen offset:0 // G -> Reg 0_0_4_0
/* sched write - iter 3 writesPerItem=1 */
s_waitcnt vmcnt(0)                                 // lgkmcnt=-1 vmcnt=0wait for global read before writing to local
_ds_store_b128 v[vgprLocalWriteAddrB], v[vgprG2LB+20:vgprG2LB+20+3] offset:23040 // lwoB_0_0_5_0 = (0*LSCB)*(MT1J+PAD) + (5*LSPB) = 23040
v_mfma_f32_16x16x16_f16 a[16+0:19+0], v[vgprValuB_X1_I0+0+0+0:vgprValuB_X1_I0+0+0+0+1], v[vgprValuA_X1_I0+8+0+0:vgprValuA_X1_I0+8+0+0+1], a[16:19]
/*  mfmaIndex:86  */
_buffer_load_b128 v[vgprG2LB+20:vgprG2LB+20+3], v[vgprGlobalReadOffsetB+0], s[sgprSrdB:sgprSrdB+3], s[sgprScalarGlobalReadOffsetB+4], offen offset:0 // G -> Reg 0_0_5_0

/* local write swap offsets a */

/* local write swap offsets b */
v_mfma_f32_16x16x16_f16 a[20+0:23+0], v[vgprValuB_X1_I0+0+0+0:vgprValuB_X1_I0+0+0+0+1], v[vgprValuA_X1_I0+10+0+0:vgprValuA_X1_I0+10+0+0+1], a[20:23]
/*  mfmaIndex:87  */
v_mfma_f32_16x16x16_f16 a[24+0:27+0], v[vgprValuB_X1_I0+0+0+0:vgprValuB_X1_I0+0+0+0+1], v[vgprValuA_X1_I0+12+0+0:vgprValuA_X1_I0+12+0+0+1], a[24:27]
/*  mfmaIndex:88  */
	;; [unrolled: 2-line block ×4, first 2 shown]
v_mfma_f32_16x16x16_f16 a[68+0:71+0], v[vgprValuB_X1_I0+2+0+0:vgprValuB_X1_I0+2+0+0+1], v[vgprValuA_X1_I0+16+0+0:vgprValuA_X1_I0+16+0+0+1], a[68:71]
s_setprio 0                                        // store optimization
/*  mfmaIndex:91  */
s_waitcnt lgkmcnt(0)                               // lgkmcnt=0 vmcnt=-13wait for local write
// Skip force waitcnt0
s_barrier //
v_mfma_f32_16x16x16_f16 a[64+0:67+0], v[vgprValuB_X1_I0+2+0+0:vgprValuB_X1_I0+2+0+0+1], v[vgprValuA_X1_I0+14+0+0:vgprValuA_X1_I0+14+0+0+1], a[64:67]
/*  mfmaIndex:92  */
s_setprio 3                                        // store optimization
_ds_load_b64 v[vgprValuA_X0_I0+0:vgprValuA_X0_I0+0+1], v[vgprLocalReadAddrA] offset:0 // L -> Reg lro=0 swapByteOffset=0 ti=16 vIdx=0 rIdx=0 oIdx=0 buffer=0 iui=0
v_mfma_f32_16x16x16_f16 a[60+0:63+0], v[vgprValuB_X1_I0+2+0+0:vgprValuB_X1_I0+2+0+0+1], v[vgprValuA_X1_I0+12+0+0:vgprValuA_X1_I0+12+0+0+1], a[60:63]
/*  mfmaIndex:93  */
_ds_load_b64 v[vgprValuB_X0_I0+0:vgprValuB_X0_I0+0+1], v[vgprLocalReadAddrB] offset:0 // L -> Reg lro=0 swapByteOffset=0 ti=64 vIdx=0 rIdx=0 oIdx=0 buffer=0 iui=0
v_mfma_f32_16x16x16_f16 a[56+0:59+0], v[vgprValuB_X1_I0+2+0+0:vgprValuB_X1_I0+2+0+0+1], v[vgprValuA_X1_I0+10+0+0:vgprValuA_X1_I0+10+0+0+1], a[56:59]
/*  mfmaIndex:94  */
_ds_load_b64 v[vgprValuA_X0_I0+2:vgprValuA_X0_I0+2+1], v[vgprLocalReadAddrA] offset:2176 // L -> Reg lro=0 swapByteOffset=0 ti=16 vIdx=1 rIdx=0 oIdx=0 buffer=0 iui=0
v_mfma_f32_16x16x16_f16 a[52+0:55+0], v[vgprValuB_X1_I0+2+0+0:vgprValuB_X1_I0+2+0+0+1], v[vgprValuA_X1_I0+8+0+0:vgprValuA_X1_I0+8+0+0+1], a[52:55]
/*  mfmaIndex:95  */
_ds_load_b64 v[vgprValuA_X0_I0+4:vgprValuA_X0_I0+4+1], v[vgprLocalReadAddrA] offset:4352 // L -> Reg lro=0 swapByteOffset=0 ti=16 vIdx=2 rIdx=0 oIdx=0 buffer=0 iui=0
	;; [unrolled: 3-line block ×8, first 2 shown]
v_mfma_f32_16x16x16_f16 a[80+0:83+0], v[vgprValuB_X1_I0+4+0+0:vgprValuB_X1_I0+4+0+0+1], v[vgprValuA_X1_I0+4+0+0:vgprValuA_X1_I0+4+0+0+1], a[80:83]
/*  mfmaIndex:102  */
_ds_load_b64 v[vgprValuB_X0_I0+2:vgprValuB_X0_I0+2+1], v[vgprLocalReadAddrB] offset:9216 // L -> Reg lro=0 swapByteOffset=0 ti=64 vIdx=1 rIdx=0 oIdx=0 buffer=0 iui=0
v_mfma_f32_16x16x16_f16 a[84+0:87+0], v[vgprValuB_X1_I0+4+0+0:vgprValuB_X1_I0+4+0+0+1], v[vgprValuA_X1_I0+6+0+0:vgprValuA_X1_I0+6+0+0+1], a[84:87]
/*  mfmaIndex:103  */
_ds_load_b64 v[vgprValuB_X0_I0+4:vgprValuB_X0_I0+4+1], v[vgprLocalReadAddrB] offset:18432 // L -> Reg lro=0 swapByteOffset=0 ti=64 vIdx=2 rIdx=0 oIdx=0 buffer=0 iui=0
v_mfma_f32_16x16x16_f16 a[88+0:91+0], v[vgprValuB_X1_I0+4+0+0:vgprValuB_X1_I0+4+0+0+1], v[vgprValuA_X1_I0+8+0+0:vgprValuA_X1_I0+8+0+0+1], a[88:91]
/*  mfmaIndex:104  */
v_mfma_f32_16x16x16_f16 a[92+0:95+0], v[vgprValuB_X1_I0+4+0+0:vgprValuB_X1_I0+4+0+0+1], v[vgprValuA_X1_I0+10+0+0:vgprValuA_X1_I0+10+0+0+1], a[92:95]
/*  mfmaIndex:105  */
	;; [unrolled: 2-line block ×4, first 2 shown]
v_mfma_f32_16x16x16_f16 a[104+0:107+0], v[vgprValuB_X1_I0+4+0+0:vgprValuB_X1_I0+4+0+0+1], v[vgprValuA_X1_I0+16+0+0:vgprValuA_X1_I0+16+0+0+1], a[104:107]
s_setprio 0                                        // store optimization
/* numPrefetchIter=1 */
/* dataAtIterA=2 numReadsIterA=3 skipReadsIterA=1 readsPerIterA=9 */
/* dataAtIterB=2 numReadsIterB=3 skipReadsIterB=1 readsPerIterB=3 */


/******************************************/
/* Unrolled Loop - End 2/2 (final)        */
/******************************************/


/* closeLoop loopL finalLoop=1 tailLoop=0 */
s_sub_u32 s[sgprLoopCounterL], s[sgprLoopCounterL], 1 // dec counterL
s_cmp_eq_i32 s[sgprLoopCounterL], 0x2              // counterL==2
s_cbranch_scc0 LoopBeginL_1                        // restart LoopL
LoopEndL_evenexit_4: // unroll loop eveniter exit
s_branch LoopEndL_2                                // exit unroll loopL (and skip second exit code)
LoopEndL_oddexit_3: // unroll loop odditer exit

/* Select high bank of LDS */
LoopEndL_2:


/* Before NLL: Check VGPR.checkin for INT8 LW */


/******************************************/
/* Ord. NoGlobalLoadLoop - Begin                                      */
/******************************************/


	;; [unrolled: 1-line block ×3, first 2 shown]
/* iter 0 */

/*  grEndMfmaIndex:12, lwStartMfmaIndex:72, lwEndMfmaIndex:86  */
/*  numMfmaForLR:16, barrierMfmaIndex:91, LocalWritePerMfma:1.665 */
/*  mfmaIndex:0  */
s_waitcnt lgkmcnt(0)                               // lgkmcnt=0 vmcnt=-1wait for prior local read local write old=0, new=0 newLW=0 newLR=0
v_mfma_f32_16x16x16_f16 a[0+0:3+0], v[vgprValuB_X0_I0+0+0+0:vgprValuB_X0_I0+0+0+0+1], v[vgprValuA_X0_I0+0+0+0:vgprValuA_X0_I0+0+0+0+1], a[0:3]
/*  mfmaIndex:1  */
_ds_load_b64 v[vgprValuA_X1_I0+0:vgprValuA_X1_I0+0+1], v[vgprLocalReadAddrA] offset:32 // L -> Reg lro=16 swapByteOffset=0 ti=16 vIdx=0 rIdx=0 oIdx=0 buffer=1 iui=0

/* global read inc A loopL */
s_add_u32 s[sgprSrdA+0], s[sgprSrdA+0], s[sgprGlobalReadIncsA+0] // gra SRD += inc(lower)
v_mfma_f32_16x16x16_f16 a[4+0:7+0], v[vgprValuB_X0_I0+0+0+0:vgprValuB_X0_I0+0+0+0+1], v[vgprValuA_X0_I0+2+0+0:vgprValuA_X0_I0+2+0+0+1], a[4:7]
/*  mfmaIndex:2  */
_ds_load_b64 v[vgprValuB_X1_I0+0:vgprValuB_X1_I0+0+1], v[vgprLocalReadAddrB] offset:32 // L -> Reg lro=16 swapByteOffset=0 ti=64 vIdx=0 rIdx=0 oIdx=0 buffer=1 iui=0
s_addc_u32  s[sgprSrdA+1], s[sgprSrdA+1], 0        // gra SRD += inc(upper)
v_mfma_f32_16x16x16_f16 a[8+0:11+0], v[vgprValuB_X0_I0+0+0+0:vgprValuB_X0_I0+0+0+0+1], v[vgprValuA_X0_I0+4+0+0:vgprValuA_X0_I0+4+0+0+1], a[8:11]
/*  mfmaIndex:3  */
_ds_load_b64 v[vgprValuA_X1_I0+2:vgprValuA_X1_I0+2+1], v[vgprLocalReadAddrA] offset:2208 // L -> Reg lro=16 swapByteOffset=0 ti=16 vIdx=1 rIdx=0 oIdx=0 buffer=1 iui=0
s_sub_u32 s[sgprShadowLimitA+0], s[sgprShadowLimitA+0], s[sgprGlobalReadIncsA+0] // limit -= inc)
v_mfma_f32_16x16x16_f16 a[12+0:15+0], v[vgprValuB_X0_I0+0+0+0:vgprValuB_X0_I0+0+0+0+1], v[vgprValuA_X0_I0+6+0+0:vgprValuA_X0_I0+6+0+0+1], a[12:15]
/*  mfmaIndex:4  */
_ds_load_b64 v[vgprValuA_X1_I0+4:vgprValuA_X1_I0+4+1], v[vgprLocalReadAddrA] offset:4384 // L -> Reg lro=16 swapByteOffset=0 ti=16 vIdx=2 rIdx=0 oIdx=0 buffer=1 iui=0
s_subb_u32 s[sgprShadowLimitA+1], s[sgprShadowLimitA+1], 0 // limit -= inc)
v_mfma_f32_16x16x16_f16 a[16+0:19+0], v[vgprValuB_X0_I0+0+0+0:vgprValuB_X0_I0+0+0+0+1], v[vgprValuA_X0_I0+8+0+0:vgprValuA_X0_I0+8+0+0+1], a[16:19]
/*  mfmaIndex:5  */
_ds_load_b64 v[vgprValuA_X1_I0+6:vgprValuA_X1_I0+6+1], v[vgprLocalReadAddrA] offset:6560 // L -> Reg lro=16 swapByteOffset=0 ti=16 vIdx=3 rIdx=0 oIdx=0 buffer=1 iui=0
s_cmp_eq_u32 s[sgprShadowLimitA+1], 0              // are we within 2^32?
v_mfma_f32_16x16x16_f16 a[20+0:23+0], v[vgprValuB_X0_I0+0+0+0:vgprValuB_X0_I0+0+0+0+1], v[vgprValuA_X0_I0+10+0+0:vgprValuA_X0_I0+10+0+0+1], a[20:23]
/*  mfmaIndex:6  */
_ds_load_b64 v[vgprValuA_X1_I0+8:vgprValuA_X1_I0+8+1], v[vgprLocalReadAddrA] offset:8736 // L -> Reg lro=16 swapByteOffset=0 ti=16 vIdx=4 rIdx=0 oIdx=0 buffer=1 iui=0
s_cmov_b32 s[sgprSrdA+2], s[sgprShadowLimitA+0]    // Move shadow to real if we are within 2^32
v_mfma_f32_16x16x16_f16 a[24+0:27+0], v[vgprValuB_X0_I0+0+0+0:vgprValuB_X0_I0+0+0+0+1], v[vgprValuA_X0_I0+12+0+0:vgprValuA_X0_I0+12+0+0+1], a[24:27]
/*  mfmaIndex:7  */
_ds_load_b64 v[vgprValuA_X1_I0+10:vgprValuA_X1_I0+10+1], v[vgprLocalReadAddrA] offset:10912 // L -> Reg lro=16 swapByteOffset=0 ti=16 vIdx=5 rIdx=0 oIdx=0 buffer=1 iui=0

/* global read inc B loopL */
s_add_u32 s[sgprSrdB+0], s[sgprSrdB+0], s[sgprGlobalReadIncsB+0] // gra SRD += inc(lower)
v_mfma_f32_16x16x16_f16 a[28+0:31+0], v[vgprValuB_X0_I0+0+0+0:vgprValuB_X0_I0+0+0+0+1], v[vgprValuA_X0_I0+14+0+0:vgprValuA_X0_I0+14+0+0+1], a[28:31]
/*  mfmaIndex:8  */
_ds_load_b64 v[vgprValuA_X1_I0+12:vgprValuA_X1_I0+12+1], v[vgprLocalReadAddrA] offset:13088 // L -> Reg lro=16 swapByteOffset=0 ti=16 vIdx=6 rIdx=0 oIdx=0 buffer=1 iui=0
s_addc_u32  s[sgprSrdB+1], s[sgprSrdB+1], 0        // gra SRD += inc(upper)
v_mfma_f32_16x16x16_f16 a[32+0:35+0], v[vgprValuB_X0_I0+0+0+0:vgprValuB_X0_I0+0+0+0+1], v[vgprValuA_X0_I0+16+0+0:vgprValuA_X0_I0+16+0+0+1], a[32:35]
/*  mfmaIndex:9  */
_ds_load_b64 v[vgprValuA_X1_I0+14:vgprValuA_X1_I0+14+1], v[vgprLocalReadAddrA] offset:15264 // L -> Reg lro=16 swapByteOffset=0 ti=16 vIdx=7 rIdx=0 oIdx=0 buffer=1 iui=0
s_sub_u32 s[sgprShadowLimitB+0], s[sgprShadowLimitB+0], s[sgprGlobalReadIncsB+0] // limit -= inc)
v_mfma_f32_16x16x16_f16 a[68+0:71+0], v[vgprValuB_X0_I0+2+0+0:vgprValuB_X0_I0+2+0+0+1], v[vgprValuA_X0_I0+16+0+0:vgprValuA_X0_I0+16+0+0+1], a[68:71]
/*  mfmaIndex:10  */
_ds_load_b64 v[vgprValuA_X1_I0+16:vgprValuA_X1_I0+16+1], v[vgprLocalReadAddrA] offset:17440 // L -> Reg lro=16 swapByteOffset=0 ti=16 vIdx=8 rIdx=0 oIdx=0 buffer=1 iui=0
s_subb_u32 s[sgprShadowLimitB+1], s[sgprShadowLimitB+1], 0 // limit -= inc)
v_mfma_f32_16x16x16_f16 a[64+0:67+0], v[vgprValuB_X0_I0+2+0+0:vgprValuB_X0_I0+2+0+0+1], v[vgprValuA_X0_I0+14+0+0:vgprValuA_X0_I0+14+0+0+1], a[64:67]
/*  mfmaIndex:11  */
_ds_load_b64 v[vgprValuB_X1_I0+2:vgprValuB_X1_I0+2+1], v[vgprLocalReadAddrB] offset:9248 // L -> Reg lro=16 swapByteOffset=0 ti=64 vIdx=1 rIdx=0 oIdx=0 buffer=1 iui=0
s_cmp_eq_u32 s[sgprShadowLimitB+1], 0              // are we within 2^32?
v_mfma_f32_16x16x16_f16 a[60+0:63+0], v[vgprValuB_X0_I0+2+0+0:vgprValuB_X0_I0+2+0+0+1], v[vgprValuA_X0_I0+12+0+0:vgprValuA_X0_I0+12+0+0+1], a[60:63]
/*  mfmaIndex:12  */
_ds_load_b64 v[vgprValuB_X1_I0+4:vgprValuB_X1_I0+4+1], v[vgprLocalReadAddrB] offset:18464 // L -> Reg lro=16 swapByteOffset=0 ti=64 vIdx=2 rIdx=0 oIdx=0 buffer=1 iui=0
s_cmov_b32 s[sgprSrdB+2], s[sgprShadowLimitB+0]    // Move shadow to real if we are within 2^32
v_mfma_f32_16x16x16_f16 a[56+0:59+0], v[vgprValuB_X0_I0+2+0+0:vgprValuB_X0_I0+2+0+0+1], v[vgprValuA_X0_I0+10+0+0:vgprValuA_X0_I0+10+0+0+1], a[56:59]
/*  mfmaIndex:13  */
/* localReadsVacancy: latencyLeft 2 */
v_mfma_f32_16x16x16_f16 a[52+0:55+0], v[vgprValuB_X0_I0+2+0+0:vgprValuB_X0_I0+2+0+0+1], v[vgprValuA_X0_I0+8+0+0:vgprValuA_X0_I0+8+0+0+1], a[52:55]
/*  mfmaIndex:14  */
/* localReadsVacancy: latencyLeft 2 */
	;; [unrolled: 3-line block ×14, first 2 shown]
v_mfma_f32_16x16x16_f16 a[104+0:107+0], v[vgprValuB_X0_I0+4+0+0:vgprValuB_X0_I0+4+0+0+1], v[vgprValuA_X0_I0+16+0+0:vgprValuA_X0_I0+16+0+0+1], a[104:107]
/* numPrefetchIter=0 */
/* dataAtIterA=-1 numReadsIterA=1 skipReadsIterA=1 readsPerIterA=9 */
/* dataAtIterB=-1 numReadsIterB=1 skipReadsIterB=1 readsPerIterB=3 */


/* iter 1 */

/*  grEndMfmaIndex:12, lwStartMfmaIndex:72, lwEndMfmaIndex:86  */
/*  numMfmaForLR:16, barrierMfmaIndex:91, LocalWritePerMfma:1.665 */
/*  mfmaIndex:27  */
_ds_load_b64 v[vgprValuA_X0_I0+0:vgprValuA_X0_I0+0+1], v[vgprLocalReadAddrA] offset:64 // L -> Reg lro=32 swapByteOffset=0 ti=16 vIdx=0 rIdx=0 oIdx=0 buffer=0 iui=0
s_waitcnt lgkmcnt(1)                               // lgkmcnt=0 vmcnt=-1wait for prior local read local write old=0, new=1 newLW=0 newLR=1
v_mfma_f32_16x16x16_f16 a[0+0:3+0], v[vgprValuB_X1_I0+0+0+0:vgprValuB_X1_I0+0+0+0+1], v[vgprValuA_X1_I0+0+0+0:vgprValuA_X1_I0+0+0+0+1], a[0:3]
/*  mfmaIndex:28  */
_ds_load_b64 v[vgprValuB_X0_I0+0:vgprValuB_X0_I0+0+1], v[vgprLocalReadAddrB] offset:64 // L -> Reg lro=32 swapByteOffset=0 ti=64 vIdx=0 rIdx=0 oIdx=0 buffer=0 iui=0
v_mfma_f32_16x16x16_f16 a[4+0:7+0], v[vgprValuB_X1_I0+0+0+0:vgprValuB_X1_I0+0+0+0+1], v[vgprValuA_X1_I0+2+0+0:vgprValuA_X1_I0+2+0+0+1], a[4:7]
/*  mfmaIndex:29  */
_ds_load_b64 v[vgprValuA_X0_I0+2:vgprValuA_X0_I0+2+1], v[vgprLocalReadAddrA] offset:2240 // L -> Reg lro=32 swapByteOffset=0 ti=16 vIdx=1 rIdx=0 oIdx=0 buffer=0 iui=0
v_mfma_f32_16x16x16_f16 a[8+0:11+0], v[vgprValuB_X1_I0+0+0+0:vgprValuB_X1_I0+0+0+0+1], v[vgprValuA_X1_I0+4+0+0:vgprValuA_X1_I0+4+0+0+1], a[8:11]
/*  mfmaIndex:30  */
_ds_load_b64 v[vgprValuA_X0_I0+4:vgprValuA_X0_I0+4+1], v[vgprLocalReadAddrA] offset:4416 // L -> Reg lro=32 swapByteOffset=0 ti=16 vIdx=2 rIdx=0 oIdx=0 buffer=0 iui=0
	;; [unrolled: 3-line block ×8, first 2 shown]
v_mfma_f32_16x16x16_f16 a[68+0:71+0], v[vgprValuB_X1_I0+2+0+0:vgprValuB_X1_I0+2+0+0+1], v[vgprValuA_X1_I0+16+0+0:vgprValuA_X1_I0+16+0+0+1], a[68:71]
/*  mfmaIndex:37  */
_ds_load_b64 v[vgprValuB_X0_I0+2:vgprValuB_X0_I0+2+1], v[vgprLocalReadAddrB] offset:9280 // L -> Reg lro=32 swapByteOffset=0 ti=64 vIdx=1 rIdx=0 oIdx=0 buffer=0 iui=0
v_mfma_f32_16x16x16_f16 a[64+0:67+0], v[vgprValuB_X1_I0+2+0+0:vgprValuB_X1_I0+2+0+0+1], v[vgprValuA_X1_I0+14+0+0:vgprValuA_X1_I0+14+0+0+1], a[64:67]
/*  mfmaIndex:38  */
_ds_load_b64 v[vgprValuB_X0_I0+4:vgprValuB_X0_I0+4+1], v[vgprLocalReadAddrB] offset:18496 // L -> Reg lro=32 swapByteOffset=0 ti=64 vIdx=2 rIdx=0 oIdx=0 buffer=0 iui=0
v_mfma_f32_16x16x16_f16 a[60+0:63+0], v[vgprValuB_X1_I0+2+0+0:vgprValuB_X1_I0+2+0+0+1], v[vgprValuA_X1_I0+12+0+0:vgprValuA_X1_I0+12+0+0+1], a[60:63]
/*  mfmaIndex:39  */
/* localReadsVacancy: latencyLeft 2 */
v_mfma_f32_16x16x16_f16 a[56+0:59+0], v[vgprValuB_X1_I0+2+0+0:vgprValuB_X1_I0+2+0+0+1], v[vgprValuA_X1_I0+10+0+0:vgprValuA_X1_I0+10+0+0+1], a[56:59]
/*  mfmaIndex:40  */
/* localReadsVacancy: latencyLeft 2 */
	;; [unrolled: 3-line block ×15, first 2 shown]
v_mfma_f32_16x16x16_f16 a[104+0:107+0], v[vgprValuB_X1_I0+4+0+0:vgprValuB_X1_I0+4+0+0+1], v[vgprValuA_X1_I0+16+0+0:vgprValuA_X1_I0+16+0+0+1], a[104:107]
/* numPrefetchIter=0 */
/* dataAtIterA=0 numReadsIterA=2 skipReadsIterA=1 readsPerIterA=9 */
/* dataAtIterB=0 numReadsIterB=2 skipReadsIterB=1 readsPerIterB=3 */


/* iter 2 (reset local read pointers iteration)  (swap local read pointers iteration)  */

/*  grEndMfmaIndex:12, lwStartMfmaIndex:72, lwEndMfmaIndex:86  */
/*  numMfmaForLR:16, barrierMfmaIndex:91, LocalWritePerMfma:1.665 */
/*  mfmaIndex:54  */
_ds_load_b64 v[vgprValuA_X1_I0+0:vgprValuA_X1_I0+0+1], v[vgprLocalReadAddrA] offset:96 // L -> Reg lro=48 swapByteOffset=0 ti=16 vIdx=0 rIdx=0 oIdx=0 buffer=1 iui=0
s_waitcnt lgkmcnt(1)                               // lgkmcnt=0 vmcnt=-1wait for prior local read local write old=0, new=1 newLW=0 newLR=1
v_mfma_f32_16x16x16_f16 a[0+0:3+0], v[vgprValuB_X0_I0+0+0+0:vgprValuB_X0_I0+0+0+0+1], v[vgprValuA_X0_I0+0+0+0:vgprValuA_X0_I0+0+0+0+1], a[0:3]
/*  mfmaIndex:55  */
_ds_load_b64 v[vgprValuB_X1_I0+0:vgprValuB_X1_I0+0+1], v[vgprLocalReadAddrB] offset:96 // L -> Reg lro=48 swapByteOffset=0 ti=64 vIdx=0 rIdx=0 oIdx=0 buffer=1 iui=0
v_mfma_f32_16x16x16_f16 a[4+0:7+0], v[vgprValuB_X0_I0+0+0+0:vgprValuB_X0_I0+0+0+0+1], v[vgprValuA_X0_I0+2+0+0:vgprValuA_X0_I0+2+0+0+1], a[4:7]
/*  mfmaIndex:56  */
_ds_load_b64 v[vgprValuA_X1_I0+2:vgprValuA_X1_I0+2+1], v[vgprLocalReadAddrA] offset:2272 // L -> Reg lro=48 swapByteOffset=0 ti=16 vIdx=1 rIdx=0 oIdx=0 buffer=1 iui=0
v_mfma_f32_16x16x16_f16 a[8+0:11+0], v[vgprValuB_X0_I0+0+0+0:vgprValuB_X0_I0+0+0+0+1], v[vgprValuA_X0_I0+4+0+0:vgprValuA_X0_I0+4+0+0+1], a[8:11]
/*  mfmaIndex:57  */
_ds_load_b64 v[vgprValuA_X1_I0+4:vgprValuA_X1_I0+4+1], v[vgprLocalReadAddrA] offset:4448 // L -> Reg lro=48 swapByteOffset=0 ti=16 vIdx=2 rIdx=0 oIdx=0 buffer=1 iui=0
v_mfma_f32_16x16x16_f16 a[12+0:15+0], v[vgprValuB_X0_I0+0+0+0:vgprValuB_X0_I0+0+0+0+1], v[vgprValuA_X0_I0+6+0+0:vgprValuA_X0_I0+6+0+0+1], a[12:15]
/*  mfmaIndex:58  */
_ds_load_b64 v[vgprValuA_X1_I0+6:vgprValuA_X1_I0+6+1], v[vgprLocalReadAddrA] offset:6624 // L -> Reg lro=48 swapByteOffset=0 ti=16 vIdx=3 rIdx=0 oIdx=0 buffer=1 iui=0
v_mfma_f32_16x16x16_f16 a[16+0:19+0], v[vgprValuB_X0_I0+0+0+0:vgprValuB_X0_I0+0+0+0+1], v[vgprValuA_X0_I0+8+0+0:vgprValuA_X0_I0+8+0+0+1], a[16:19]
/*  mfmaIndex:59  */
_ds_load_b64 v[vgprValuA_X1_I0+8:vgprValuA_X1_I0+8+1], v[vgprLocalReadAddrA] offset:8800 // L -> Reg lro=48 swapByteOffset=0 ti=16 vIdx=4 rIdx=0 oIdx=0 buffer=1 iui=0
v_mfma_f32_16x16x16_f16 a[20+0:23+0], v[vgprValuB_X0_I0+0+0+0:vgprValuB_X0_I0+0+0+0+1], v[vgprValuA_X0_I0+10+0+0:vgprValuA_X0_I0+10+0+0+1], a[20:23]
/*  mfmaIndex:60  */
_ds_load_b64 v[vgprValuA_X1_I0+10:vgprValuA_X1_I0+10+1], v[vgprLocalReadAddrA] offset:10976 // L -> Reg lro=48 swapByteOffset=0 ti=16 vIdx=5 rIdx=0 oIdx=0 buffer=1 iui=0
v_mfma_f32_16x16x16_f16 a[24+0:27+0], v[vgprValuB_X0_I0+0+0+0:vgprValuB_X0_I0+0+0+0+1], v[vgprValuA_X0_I0+12+0+0:vgprValuA_X0_I0+12+0+0+1], a[24:27]
/*  mfmaIndex:61  */
_ds_load_b64 v[vgprValuA_X1_I0+12:vgprValuA_X1_I0+12+1], v[vgprLocalReadAddrA] offset:13152 // L -> Reg lro=48 swapByteOffset=0 ti=16 vIdx=6 rIdx=0 oIdx=0 buffer=1 iui=0
v_mfma_f32_16x16x16_f16 a[28+0:31+0], v[vgprValuB_X0_I0+0+0+0:vgprValuB_X0_I0+0+0+0+1], v[vgprValuA_X0_I0+14+0+0:vgprValuA_X0_I0+14+0+0+1], a[28:31]
/*  mfmaIndex:62  */
_ds_load_b64 v[vgprValuA_X1_I0+14:vgprValuA_X1_I0+14+1], v[vgprLocalReadAddrA] offset:15328 // L -> Reg lro=48 swapByteOffset=0 ti=16 vIdx=7 rIdx=0 oIdx=0 buffer=1 iui=0
v_mfma_f32_16x16x16_f16 a[32+0:35+0], v[vgprValuB_X0_I0+0+0+0:vgprValuB_X0_I0+0+0+0+1], v[vgprValuA_X0_I0+16+0+0:vgprValuA_X0_I0+16+0+0+1], a[32:35]
/*  mfmaIndex:63  */
_ds_load_b64 v[vgprValuA_X1_I0+16:vgprValuA_X1_I0+16+1], v[vgprLocalReadAddrA] offset:17504 // L -> Reg lro=48 swapByteOffset=0 ti=16 vIdx=8 rIdx=0 oIdx=0 buffer=1 iui=0
v_mfma_f32_16x16x16_f16 a[68+0:71+0], v[vgprValuB_X0_I0+2+0+0:vgprValuB_X0_I0+2+0+0+1], v[vgprValuA_X0_I0+16+0+0:vgprValuA_X0_I0+16+0+0+1], a[68:71]
/*  mfmaIndex:64  */
_ds_load_b64 v[vgprValuB_X1_I0+2:vgprValuB_X1_I0+2+1], v[vgprLocalReadAddrB] offset:9312 // L -> Reg lro=48 swapByteOffset=0 ti=64 vIdx=1 rIdx=0 oIdx=0 buffer=1 iui=0
v_mfma_f32_16x16x16_f16 a[64+0:67+0], v[vgprValuB_X0_I0+2+0+0:vgprValuB_X0_I0+2+0+0+1], v[vgprValuA_X0_I0+14+0+0:vgprValuA_X0_I0+14+0+0+1], a[64:67]
/*  mfmaIndex:65  */
_ds_load_b64 v[vgprValuB_X1_I0+4:vgprValuB_X1_I0+4+1], v[vgprLocalReadAddrB] offset:18528 // L -> Reg lro=48 swapByteOffset=0 ti=64 vIdx=2 rIdx=0 oIdx=0 buffer=1 iui=0
v_mfma_f32_16x16x16_f16 a[60+0:63+0], v[vgprValuB_X0_I0+2+0+0:vgprValuB_X0_I0+2+0+0+1], v[vgprValuA_X0_I0+12+0+0:vgprValuA_X0_I0+12+0+0+1], a[60:63]
/*  mfmaIndex:66  */
/* localReadsVacancy: latencyLeft 2 */
v_mfma_f32_16x16x16_f16 a[56+0:59+0], v[vgprValuB_X0_I0+2+0+0:vgprValuB_X0_I0+2+0+0+1], v[vgprValuA_X0_I0+10+0+0:vgprValuA_X0_I0+10+0+0+1], a[56:59]
/*  mfmaIndex:67  */
/* localReadsVacancy: latencyLeft 2 */
	;; [unrolled: 3-line block ×6, first 2 shown]
/* 1 LDS buffer: read-sync-write */
s_waitcnt lgkmcnt(0)                               // 
s_barrier                                          // 
v_mfma_f32_16x16x16_f16 a[36+0:39+0], v[vgprValuB_X0_I0+2+0+0:vgprValuB_X0_I0+2+0+0+1], v[vgprValuA_X0_I0+0+0+0:vgprValuA_X0_I0+0+0+0+1], a[36:39]
/*  mfmaIndex:72  */
s_setprio 3                                        // store optimization
/* sched write - iter 2 writesPerItem=1 */
s_waitcnt vmcnt(0)                                 // lgkmcnt=-1 vmcnt=0wait for global read before writing to local
_ds_store_b32 v[vgprLocalWriteAddrA], v[vgprG2LA+0] offset:0 // lwoA_0_0_0_0 = (0*LSCA)*(MT0I+PAD) + (0*LSPA) = 0
/* sched write - iter 2 writesPerItem=1 */
s_waitcnt vmcnt(0)                                 // lgkmcnt=-1 vmcnt=0wait for global read before writing to local
_ds_store_b32 v[vgprLocalWriteAddrA], v[vgprG2LA+1] offset:1088 // lwoA_0_0_1_0 = (0*LSCA)*(MT0I+PAD) + (1*LSPA) = 1088
v_mfma_f32_16x16x16_f16 a[72+0:75+0], v[vgprValuB_X0_I0+4+0+0:vgprValuB_X0_I0+4+0+0+1], v[vgprValuA_X0_I0+0+0+0:vgprValuA_X0_I0+0+0+0+1], a[72:75]
/*  mfmaIndex:73  */
/* sched write - iter 2 writesPerItem=1 */
s_waitcnt vmcnt(0)                                 // lgkmcnt=-1 vmcnt=0wait for global read before writing to local
_ds_store_b32 v[vgprLocalWriteAddrA], v[vgprG2LA+2] offset:2176 // lwoA_0_0_2_0 = (0*LSCA)*(MT0I+PAD) + (2*LSPA) = 2176
/* sched write - iter 2 writesPerItem=1 */
s_waitcnt vmcnt(0)                                 // lgkmcnt=-1 vmcnt=0wait for global read before writing to local
_ds_store_b32 v[vgprLocalWriteAddrA], v[vgprG2LA+3] offset:3264 // lwoA_0_0_3_0 = (0*LSCA)*(MT0I+PAD) + (3*LSPA) = 3264
v_mfma_f32_16x16x16_f16 a[76+0:79+0], v[vgprValuB_X0_I0+4+0+0:vgprValuB_X0_I0+4+0+0+1], v[vgprValuA_X0_I0+2+0+0:vgprValuA_X0_I0+2+0+0+1], a[76:79]
/*  mfmaIndex:74  */
/* sched write - iter 2 writesPerItem=1 */
s_waitcnt vmcnt(0)                                 // lgkmcnt=-1 vmcnt=0wait for global read before writing to local
_ds_store_b32 v[vgprLocalWriteAddrA], v[vgprG2LA+4] offset:4352 // lwoA_0_0_4_0 = (0*LSCA)*(MT0I+PAD) + (4*LSPA) = 4352
v_mfma_f32_16x16x16_f16 a[80+0:83+0], v[vgprValuB_X0_I0+4+0+0:vgprValuB_X0_I0+4+0+0+1], v[vgprValuA_X0_I0+4+0+0:vgprValuA_X0_I0+4+0+0+1], a[80:83]
/*  mfmaIndex:75  */
/* sched write - iter 2 writesPerItem=1 */
s_waitcnt vmcnt(0)                                 // lgkmcnt=-1 vmcnt=0wait for global read before writing to local
_ds_store_b32 v[vgprLocalWriteAddrA], v[vgprG2LA+5] offset:5440 // lwoA_0_0_5_0 = (0*LSCA)*(MT0I+PAD) + (5*LSPA) = 5440
/* sched write - iter 2 writesPerItem=1 */
s_waitcnt vmcnt(0)                                 // lgkmcnt=-1 vmcnt=0wait for global read before writing to local
_ds_store_b32 v[vgprLocalWriteAddrA], v[vgprG2LA+6] offset:6528 // lwoA_0_0_6_0 = (0*LSCA)*(MT0I+PAD) + (6*LSPA) = 6528
v_mfma_f32_16x16x16_f16 a[84+0:87+0], v[vgprValuB_X0_I0+4+0+0:vgprValuB_X0_I0+4+0+0+1], v[vgprValuA_X0_I0+6+0+0:vgprValuA_X0_I0+6+0+0+1], a[84:87]
/*  mfmaIndex:76  */
/* sched write - iter 2 writesPerItem=1 */
s_waitcnt vmcnt(0)                                 // lgkmcnt=-1 vmcnt=0wait for global read before writing to local
_ds_store_b32 v[vgprLocalWriteAddrA], v[vgprG2LA+7] offset:7616 // lwoA_0_0_7_0 = (0*LSCA)*(MT0I+PAD) + (7*LSPA) = 7616
/* sched write - iter 2 writesPerItem=1 */
s_waitcnt vmcnt(0)                                 // lgkmcnt=-1 vmcnt=0wait for global read before writing to local
_ds_store_b32 v[vgprLocalWriteAddrA], v[vgprG2LA+8] offset:8704 // lwoA_0_0_8_0 = (0*LSCA)*(MT0I+PAD) + (8*LSPA) = 8704
v_mfma_f32_16x16x16_f16 a[88+0:91+0], v[vgprValuB_X0_I0+4+0+0:vgprValuB_X0_I0+4+0+0+1], v[vgprValuA_X0_I0+8+0+0:vgprValuA_X0_I0+8+0+0+1], a[88:91]
/*  mfmaIndex:77  */
/* sched write - iter 2 writesPerItem=1 */
s_waitcnt vmcnt(0)                                 // lgkmcnt=-1 vmcnt=0wait for global read before writing to local
_ds_store_b32 v[vgprLocalWriteAddrA], v[vgprG2LA+9] offset:9792 // lwoA_0_0_9_0 = (0*LSCA)*(MT0I+PAD) + (9*LSPA) = 9792
v_mfma_f32_16x16x16_f16 a[92+0:95+0], v[vgprValuB_X0_I0+4+0+0:vgprValuB_X0_I0+4+0+0+1], v[vgprValuA_X0_I0+10+0+0:vgprValuA_X0_I0+10+0+0+1], a[92:95]
/*  mfmaIndex:78  */
/* sched write - iter 2 writesPerItem=1 */
s_waitcnt vmcnt(0)                                 // lgkmcnt=-1 vmcnt=0wait for global read before writing to local
_ds_store_b32 v[vgprLocalWriteAddrA], v[vgprG2LA+10] offset:10880 // lwoA_0_0_10_0 = (0*LSCA)*(MT0I+PAD) + (10*LSPA) = 10880
/* sched write - iter 2 writesPerItem=1 */
s_waitcnt vmcnt(0)                                 // lgkmcnt=-1 vmcnt=0wait for global read before writing to local
_ds_store_b32 v[vgprLocalWriteAddrA], v[vgprG2LA+11] offset:11968 // lwoA_0_0_11_0 = (0*LSCA)*(MT0I+PAD) + (11*LSPA) = 11968
v_mfma_f32_16x16x16_f16 a[96+0:99+0], v[vgprValuB_X0_I0+4+0+0:vgprValuB_X0_I0+4+0+0+1], v[vgprValuA_X0_I0+12+0+0:vgprValuA_X0_I0+12+0+0+1], a[96:99]
/*  mfmaIndex:79  */
/* sched write - iter 2 writesPerItem=1 */
s_waitcnt vmcnt(0)                                 // lgkmcnt=-1 vmcnt=0wait for global read before writing to local
_ds_store_b32 v[vgprLocalWriteAddrA], v[vgprG2LA+12] offset:13056 // lwoA_0_0_12_0 = (0*LSCA)*(MT0I+PAD) + (12*LSPA) = 13056
/* sched write - iter 2 writesPerItem=1 */
s_waitcnt vmcnt(0)                                 // lgkmcnt=-1 vmcnt=0wait for global read before writing to local
_ds_store_b32 v[vgprLocalWriteAddrA], v[vgprG2LA+13] offset:14144 // lwoA_0_0_13_0 = (0*LSCA)*(MT0I+PAD) + (13*LSPA) = 14144
v_mfma_f32_16x16x16_f16 a[100+0:103+0], v[vgprValuB_X0_I0+4+0+0:vgprValuB_X0_I0+4+0+0+1], v[vgprValuA_X0_I0+14+0+0:vgprValuA_X0_I0+14+0+0+1], a[100:103]
/*  mfmaIndex:80  */
/* sched write - iter 2 writesPerItem=1 */
s_waitcnt vmcnt(0)                                 // lgkmcnt=-1 vmcnt=0wait for global read before writing to local
_ds_store_b32 v[vgprLocalWriteAddrA], v[vgprG2LA+14] offset:15232 // lwoA_0_0_14_0 = (0*LSCA)*(MT0I+PAD) + (14*LSPA) = 15232

/* local read swap offsets a */

/* local read swap offsets b */

/* local read init pointers a */

/* localReadInitPointers */

/* local read init pointers b */

/* localReadInitPointers */
v_mfma_f32_16x16x16_f16 a[104+0:107+0], v[vgprValuB_X0_I0+4+0+0:vgprValuB_X0_I0+4+0+0+1], v[vgprValuA_X0_I0+16+0+0:vgprValuA_X0_I0+16+0+0+1], a[104:107]
/* numPrefetchIter=0 */
/* dataAtIterA=1 numReadsIterA=3 skipReadsIterA=1 readsPerIterA=9 */
/* dataAtIterB=1 numReadsIterB=3 skipReadsIterB=1 readsPerIterB=3 */


/* iter 3 (swap and reset local write pointers iteration)  */

/*  grEndMfmaIndex:12, lwStartMfmaIndex:72, lwEndMfmaIndex:86  */
/*  numMfmaForLR:16, barrierMfmaIndex:91, LocalWritePerMfma:1.665 */
/*  mfmaIndex:81  */
/* sched write - iter 3 writesPerItem=1 */
s_waitcnt vmcnt(0)                                 // lgkmcnt=-1 vmcnt=0wait for global read before writing to local
_ds_store_b32 v[vgprLocalWriteAddrA], v[vgprG2LA+15] offset:16320 // lwoA_0_0_15_0 = (0*LSCA)*(MT0I+PAD) + (15*LSPA) = 16320
/* sched write - iter 3 writesPerItem=1 */
s_waitcnt vmcnt(0)                                 // lgkmcnt=-1 vmcnt=0wait for global read before writing to local
_ds_store_b32 v[vgprLocalWriteAddrA], v[vgprG2LA+16] offset:17408 // lwoA_0_0_16_0 = (0*LSCA)*(MT0I+PAD) + (16*LSPA) = 17408
s_waitcnt lgkmcnt(15)                              // lgkmcnt=0 vmcnt=-1wait for prior local read local write old=0, new=17 newLW=17 newLR=0
v_mfma_f32_16x16x16_f16 a[0+0:3+0], v[vgprValuB_X1_I0+0+0+0:vgprValuB_X1_I0+0+0+0+1], v[vgprValuA_X1_I0+0+0+0:vgprValuA_X1_I0+0+0+0+1], a[0:3]
/*  mfmaIndex:82  */
/* sched write - iter 3 writesPerItem=1 */
s_waitcnt vmcnt(0)                                 // lgkmcnt=-1 vmcnt=0wait for global read before writing to local
_ds_store_b32 v[vgprLocalWriteAddrA], v[vgprG2LA+17] offset:18496 // lwoA_0_0_17_0 = (0*LSCA)*(MT0I+PAD) + (17*LSPA) = 18496
/* sched write - iter 3 writesPerItem=1 */
s_waitcnt vmcnt(0)                                 // lgkmcnt=-1 vmcnt=0wait for global read before writing to local
_ds_store_b128 v[vgprLocalWriteAddrB], v[vgprG2LB+0:vgprG2LB+0+3] offset:0 // lwoB_0_0_0_0 = (0*LSCB)*(MT1J+PAD) + (0*LSPB) = 0
v_mfma_f32_16x16x16_f16 a[4+0:7+0], v[vgprValuB_X1_I0+0+0+0:vgprValuB_X1_I0+0+0+0+1], v[vgprValuA_X1_I0+2+0+0:vgprValuA_X1_I0+2+0+0+1], a[4:7]
/*  mfmaIndex:83  */
/* sched write - iter 3 writesPerItem=1 */
s_waitcnt vmcnt(0)                                 // lgkmcnt=-1 vmcnt=0wait for global read before writing to local
_ds_store_b128 v[vgprLocalWriteAddrB], v[vgprG2LB+4:vgprG2LB+4+3] offset:4608 // lwoB_0_0_1_0 = (0*LSCB)*(MT1J+PAD) + (1*LSPB) = 4608
v_mfma_f32_16x16x16_f16 a[8+0:11+0], v[vgprValuB_X1_I0+0+0+0:vgprValuB_X1_I0+0+0+0+1], v[vgprValuA_X1_I0+4+0+0:vgprValuA_X1_I0+4+0+0+1], a[8:11]
/*  mfmaIndex:84  */
/* sched write - iter 3 writesPerItem=1 */
s_waitcnt vmcnt(0)                                 // lgkmcnt=-1 vmcnt=0wait for global read before writing to local
_ds_store_b128 v[vgprLocalWriteAddrB], v[vgprG2LB+8:vgprG2LB+8+3] offset:9216 // lwoB_0_0_2_0 = (0*LSCB)*(MT1J+PAD) + (2*LSPB) = 9216
/* sched write - iter 3 writesPerItem=1 */
s_waitcnt vmcnt(0)                                 // lgkmcnt=-1 vmcnt=0wait for global read before writing to local
_ds_store_b128 v[vgprLocalWriteAddrB], v[vgprG2LB+12:vgprG2LB+12+3] offset:13824 // lwoB_0_0_3_0 = (0*LSCB)*(MT1J+PAD) + (3*LSPB) = 13824
v_mfma_f32_16x16x16_f16 a[12+0:15+0], v[vgprValuB_X1_I0+0+0+0:vgprValuB_X1_I0+0+0+0+1], v[vgprValuA_X1_I0+6+0+0:vgprValuA_X1_I0+6+0+0+1], a[12:15]
/*  mfmaIndex:85  */
/* sched write - iter 3 writesPerItem=1 */
s_waitcnt vmcnt(0)                                 // lgkmcnt=-1 vmcnt=0wait for global read before writing to local
_ds_store_b128 v[vgprLocalWriteAddrB], v[vgprG2LB+16:vgprG2LB+16+3] offset:18432 // lwoB_0_0_4_0 = (0*LSCB)*(MT1J+PAD) + (4*LSPB) = 18432
/* sched write - iter 3 writesPerItem=1 */
s_waitcnt vmcnt(0)                                 // lgkmcnt=-1 vmcnt=0wait for global read before writing to local
_ds_store_b128 v[vgprLocalWriteAddrB], v[vgprG2LB+20:vgprG2LB+20+3] offset:23040 // lwoB_0_0_5_0 = (0*LSCB)*(MT1J+PAD) + (5*LSPB) = 23040
v_mfma_f32_16x16x16_f16 a[16+0:19+0], v[vgprValuB_X1_I0+0+0+0:vgprValuB_X1_I0+0+0+0+1], v[vgprValuA_X1_I0+8+0+0:vgprValuA_X1_I0+8+0+0+1], a[16:19]
/*  mfmaIndex:86  */

/* local write swap offsets a */

/* local write swap offsets b */
v_mfma_f32_16x16x16_f16 a[20+0:23+0], v[vgprValuB_X1_I0+0+0+0:vgprValuB_X1_I0+0+0+0+1], v[vgprValuA_X1_I0+10+0+0:vgprValuA_X1_I0+10+0+0+1], a[20:23]
/*  mfmaIndex:87  */
v_mfma_f32_16x16x16_f16 a[24+0:27+0], v[vgprValuB_X1_I0+0+0+0:vgprValuB_X1_I0+0+0+0+1], v[vgprValuA_X1_I0+12+0+0:vgprValuA_X1_I0+12+0+0+1], a[24:27]
/*  mfmaIndex:88  */
	;; [unrolled: 2-line block ×4, first 2 shown]
v_mfma_f32_16x16x16_f16 a[68+0:71+0], v[vgprValuB_X1_I0+2+0+0:vgprValuB_X1_I0+2+0+0+1], v[vgprValuA_X1_I0+16+0+0:vgprValuA_X1_I0+16+0+0+1], a[68:71]
s_setprio 0                                        // store optimization
/*  mfmaIndex:91  */
s_waitcnt lgkmcnt(0)                               // lgkmcnt=0 vmcnt=-13wait for local write
// Skip force waitcnt0
s_barrier //
v_mfma_f32_16x16x16_f16 a[64+0:67+0], v[vgprValuB_X1_I0+2+0+0:vgprValuB_X1_I0+2+0+0+1], v[vgprValuA_X1_I0+14+0+0:vgprValuA_X1_I0+14+0+0+1], a[64:67]
/*  mfmaIndex:92  */
s_setprio 3                                        // store optimization
_ds_load_b64 v[vgprValuA_X0_I0+0:vgprValuA_X0_I0+0+1], v[vgprLocalReadAddrA] offset:0 // L -> Reg lro=0 swapByteOffset=0 ti=16 vIdx=0 rIdx=0 oIdx=0 buffer=0 iui=0
v_mfma_f32_16x16x16_f16 a[60+0:63+0], v[vgprValuB_X1_I0+2+0+0:vgprValuB_X1_I0+2+0+0+1], v[vgprValuA_X1_I0+12+0+0:vgprValuA_X1_I0+12+0+0+1], a[60:63]
/*  mfmaIndex:93  */
_ds_load_b64 v[vgprValuB_X0_I0+0:vgprValuB_X0_I0+0+1], v[vgprLocalReadAddrB] offset:0 // L -> Reg lro=0 swapByteOffset=0 ti=64 vIdx=0 rIdx=0 oIdx=0 buffer=0 iui=0
v_mfma_f32_16x16x16_f16 a[56+0:59+0], v[vgprValuB_X1_I0+2+0+0:vgprValuB_X1_I0+2+0+0+1], v[vgprValuA_X1_I0+10+0+0:vgprValuA_X1_I0+10+0+0+1], a[56:59]
/*  mfmaIndex:94  */
_ds_load_b64 v[vgprValuA_X0_I0+2:vgprValuA_X0_I0+2+1], v[vgprLocalReadAddrA] offset:2176 // L -> Reg lro=0 swapByteOffset=0 ti=16 vIdx=1 rIdx=0 oIdx=0 buffer=0 iui=0
v_mfma_f32_16x16x16_f16 a[52+0:55+0], v[vgprValuB_X1_I0+2+0+0:vgprValuB_X1_I0+2+0+0+1], v[vgprValuA_X1_I0+8+0+0:vgprValuA_X1_I0+8+0+0+1], a[52:55]
/*  mfmaIndex:95  */
_ds_load_b64 v[vgprValuA_X0_I0+4:vgprValuA_X0_I0+4+1], v[vgprLocalReadAddrA] offset:4352 // L -> Reg lro=0 swapByteOffset=0 ti=16 vIdx=2 rIdx=0 oIdx=0 buffer=0 iui=0
v_mfma_f32_16x16x16_f16 a[48+0:51+0], v[vgprValuB_X1_I0+2+0+0:vgprValuB_X1_I0+2+0+0+1], v[vgprValuA_X1_I0+6+0+0:vgprValuA_X1_I0+6+0+0+1], a[48:51]
/*  mfmaIndex:96  */
_ds_load_b64 v[vgprValuA_X0_I0+6:vgprValuA_X0_I0+6+1], v[vgprLocalReadAddrA] offset:6528 // L -> Reg lro=0 swapByteOffset=0 ti=16 vIdx=3 rIdx=0 oIdx=0 buffer=0 iui=0
v_mfma_f32_16x16x16_f16 a[44+0:47+0], v[vgprValuB_X1_I0+2+0+0:vgprValuB_X1_I0+2+0+0+1], v[vgprValuA_X1_I0+4+0+0:vgprValuA_X1_I0+4+0+0+1], a[44:47]
/*  mfmaIndex:97  */
_ds_load_b64 v[vgprValuA_X0_I0+8:vgprValuA_X0_I0+8+1], v[vgprLocalReadAddrA] offset:8704 // L -> Reg lro=0 swapByteOffset=0 ti=16 vIdx=4 rIdx=0 oIdx=0 buffer=0 iui=0
v_mfma_f32_16x16x16_f16 a[40+0:43+0], v[vgprValuB_X1_I0+2+0+0:vgprValuB_X1_I0+2+0+0+1], v[vgprValuA_X1_I0+2+0+0:vgprValuA_X1_I0+2+0+0+1], a[40:43]
/*  mfmaIndex:98  */
_ds_load_b64 v[vgprValuA_X0_I0+10:vgprValuA_X0_I0+10+1], v[vgprLocalReadAddrA] offset:10880 // L -> Reg lro=0 swapByteOffset=0 ti=16 vIdx=5 rIdx=0 oIdx=0 buffer=0 iui=0
v_mfma_f32_16x16x16_f16 a[36+0:39+0], v[vgprValuB_X1_I0+2+0+0:vgprValuB_X1_I0+2+0+0+1], v[vgprValuA_X1_I0+0+0+0:vgprValuA_X1_I0+0+0+0+1], a[36:39]
/*  mfmaIndex:99  */
_ds_load_b64 v[vgprValuA_X0_I0+12:vgprValuA_X0_I0+12+1], v[vgprLocalReadAddrA] offset:13056 // L -> Reg lro=0 swapByteOffset=0 ti=16 vIdx=6 rIdx=0 oIdx=0 buffer=0 iui=0
v_mfma_f32_16x16x16_f16 a[72+0:75+0], v[vgprValuB_X1_I0+4+0+0:vgprValuB_X1_I0+4+0+0+1], v[vgprValuA_X1_I0+0+0+0:vgprValuA_X1_I0+0+0+0+1], a[72:75]
/*  mfmaIndex:100  */
_ds_load_b64 v[vgprValuA_X0_I0+14:vgprValuA_X0_I0+14+1], v[vgprLocalReadAddrA] offset:15232 // L -> Reg lro=0 swapByteOffset=0 ti=16 vIdx=7 rIdx=0 oIdx=0 buffer=0 iui=0
v_mfma_f32_16x16x16_f16 a[76+0:79+0], v[vgprValuB_X1_I0+4+0+0:vgprValuB_X1_I0+4+0+0+1], v[vgprValuA_X1_I0+2+0+0:vgprValuA_X1_I0+2+0+0+1], a[76:79]
/*  mfmaIndex:101  */
_ds_load_b64 v[vgprValuA_X0_I0+16:vgprValuA_X0_I0+16+1], v[vgprLocalReadAddrA] offset:17408 // L -> Reg lro=0 swapByteOffset=0 ti=16 vIdx=8 rIdx=0 oIdx=0 buffer=0 iui=0
v_mfma_f32_16x16x16_f16 a[80+0:83+0], v[vgprValuB_X1_I0+4+0+0:vgprValuB_X1_I0+4+0+0+1], v[vgprValuA_X1_I0+4+0+0:vgprValuA_X1_I0+4+0+0+1], a[80:83]
/*  mfmaIndex:102  */
_ds_load_b64 v[vgprValuB_X0_I0+2:vgprValuB_X0_I0+2+1], v[vgprLocalReadAddrB] offset:9216 // L -> Reg lro=0 swapByteOffset=0 ti=64 vIdx=1 rIdx=0 oIdx=0 buffer=0 iui=0
v_mfma_f32_16x16x16_f16 a[84+0:87+0], v[vgprValuB_X1_I0+4+0+0:vgprValuB_X1_I0+4+0+0+1], v[vgprValuA_X1_I0+6+0+0:vgprValuA_X1_I0+6+0+0+1], a[84:87]
/*  mfmaIndex:103  */
_ds_load_b64 v[vgprValuB_X0_I0+4:vgprValuB_X0_I0+4+1], v[vgprLocalReadAddrB] offset:18432 // L -> Reg lro=0 swapByteOffset=0 ti=64 vIdx=2 rIdx=0 oIdx=0 buffer=0 iui=0
v_mfma_f32_16x16x16_f16 a[88+0:91+0], v[vgprValuB_X1_I0+4+0+0:vgprValuB_X1_I0+4+0+0+1], v[vgprValuA_X1_I0+8+0+0:vgprValuA_X1_I0+8+0+0+1], a[88:91]
/*  mfmaIndex:104  */
v_mfma_f32_16x16x16_f16 a[92+0:95+0], v[vgprValuB_X1_I0+4+0+0:vgprValuB_X1_I0+4+0+0+1], v[vgprValuA_X1_I0+10+0+0:vgprValuA_X1_I0+10+0+0+1], a[92:95]
/*  mfmaIndex:105  */
	;; [unrolled: 2-line block ×4, first 2 shown]
v_mfma_f32_16x16x16_f16 a[104+0:107+0], v[vgprValuB_X1_I0+4+0+0:vgprValuB_X1_I0+4+0+0+1], v[vgprValuA_X1_I0+16+0+0:vgprValuA_X1_I0+16+0+0+1], a[104:107]
s_setprio 0                                        // store optimization
/* numPrefetchIter=1 */
/* dataAtIterA=2 numReadsIterA=3 skipReadsIterA=1 readsPerIterA=9 */
/* dataAtIterB=2 numReadsIterB=3 skipReadsIterB=1 readsPerIterB=3 */

label_0014:


/******************************************/
/* Opt. NoLoadLoop Without PAP - Begin                                      */
/******************************************/

s_cmpk_eq_u32 s[sgprBeta], 0x0                     // Beta == 0
s_cbranch_scc0 OptNLL_End_17                       // Branch if Beta is not zero

s_cmp_eq_u32 s[sgprAlpha], 1.0                     // Alpha == 1.0 ?
s_cbranch_scc0 OptNLL_End_17                       // branch if alpha != 1

s_mov_b32 s79, 0x0                                 // STATIC_DIV: divisior=144
s_mul_i32 s78, 0x38e, s[sgprSizeI]                 // tmp1 = dividend * magic hi
s_lshl_b64 s[78:79], s[78:79], 0x10                // left shift 16 bits
s_mul_i32 s77, s[sgprSizeI], 0x38e4                // tmp0 = dividend * magic lo
s_add_u32 s78, s77, s78                            // add lo
s_addc_u32 s79, s79, 0x0                           // add hi
s_lshr_b64 s[78:79], s[78:79], 0x21                // tmp1 = (dividend * magic) << shift
s_mov_b32 s77, s78                                 // quotient
s_mul_i32 s78, s77, 0x90                           // quotient*divisor
s_sub_u32 s76, s[sgprSizeI], s78                   // rReg = dividend - quotient*divisor
s_add_u32 s77, -0x1, s[sgprNumWorkGroups0]         // 
s_cmp_ge_u32 s[sgprWorkGroup0], s77                // wg0 >= nwg0-1 ?
s_cselect_b32 s76, s76, 0                          // set rMT0
s_cmpk_gt_u32 s76, 0x0                             // rMT0 > 0
s_cbranch_scc1 OptNLL_End_17                       // jump if edges required
s_mov_b32 s79, 0x0                                 // STATIC_DIV: divisior=192
s_mul_i32 s78, 0x2aa, s[sgprSizeJ]                 // tmp1 = dividend * magic hi
s_lshl_b64 s[78:79], s[78:79], 0x10                // left shift 16 bits
s_mul_i32 s77, s[sgprSizeJ], 0xaaab                // tmp0 = dividend * magic lo
s_add_u32 s78, s77, s78                            // add lo
s_addc_u32 s79, s79, 0x0                           // add hi
s_lshr_b64 s[78:79], s[78:79], 0x21                // tmp1 = (dividend * magic) << shift
s_mov_b32 s77, s78                                 // quotient
s_mul_i32 s78, s77, 0xc0                           // quotient*divisor
s_sub_u32 s76, s[sgprSizeJ], s78                   // rReg = dividend - quotient*divisor
s_add_u32 s77, -0x1, s[sgprNumWorkGroups1]         // 
s_cmp_ge_u32 s[sgprWorkGroup1], s77                // wg1 >= nwg1-1
s_cselect_b32 s76, s76, 0                          // set rMT1
s_cmpk_gt_u32 s76, 0x0                             // rMT1 > 0
s_cbranch_scc1 OptNLL_End_17                       // jump if edges required

s_and_b32 s77, 63, s[sgprSizesSum+0]               // s77 = s[sgprSizesSum+0] % 64
s_cmp_eq_u32 s77, 0x0                              // numIterL == 0
s_cbranch_scc0 OptNLL_End_17                       // skip if tail loop required



/* iter 0 (last unrolled loop) */

/*  grEndMfmaIndex:0, lwStartMfmaIndex:86, lwEndMfmaIndex:86  */
/*  numMfmaForLR:16, barrierMfmaIndex:91, LocalWritePerMfma:1.665 */
/*  mfmaIndex:0  */
s_waitcnt lgkmcnt(0)                               // lgkmcnt=0 vmcnt=-1wait for prior local read local write old=0, new=0 newLW=0 newLR=0
v_mfma_f32_16x16x16_f16 a[0+0:3+0], v[vgprValuB_X0_I0+0+0+0:vgprValuB_X0_I0+0+0+0+1], v[vgprValuA_X0_I0+0+0+0:vgprValuA_X0_I0+0+0+0+1], a[0:3]
/*  mfmaIndex:1  */
_ds_load_b64 v[vgprValuA_X1_I0+0:vgprValuA_X1_I0+0+1], v[vgprLocalReadAddrA] offset:32 // L -> Reg lro=16 swapByteOffset=0 ti=16 vIdx=0 rIdx=0 oIdx=0 buffer=1 iui=0
v_mfma_f32_16x16x16_f16 a[4+0:7+0], v[vgprValuB_X0_I0+0+0+0:vgprValuB_X0_I0+0+0+0+1], v[vgprValuA_X0_I0+2+0+0:vgprValuA_X0_I0+2+0+0+1], a[4:7]
/*  mfmaIndex:2  */
_ds_load_b64 v[vgprValuB_X1_I0+0:vgprValuB_X1_I0+0+1], v[vgprLocalReadAddrB] offset:32 // L -> Reg lro=16 swapByteOffset=0 ti=64 vIdx=0 rIdx=0 oIdx=0 buffer=1 iui=0
v_mfma_f32_16x16x16_f16 a[8+0:11+0], v[vgprValuB_X0_I0+0+0+0:vgprValuB_X0_I0+0+0+0+1], v[vgprValuA_X0_I0+4+0+0:vgprValuA_X0_I0+4+0+0+1], a[8:11]
/*  mfmaIndex:3  */
_ds_load_b64 v[vgprValuA_X1_I0+2:vgprValuA_X1_I0+2+1], v[vgprLocalReadAddrA] offset:2208 // L -> Reg lro=16 swapByteOffset=0 ti=16 vIdx=1 rIdx=0 oIdx=0 buffer=1 iui=0
v_mfma_f32_16x16x16_f16 a[12+0:15+0], v[vgprValuB_X0_I0+0+0+0:vgprValuB_X0_I0+0+0+0+1], v[vgprValuA_X0_I0+6+0+0:vgprValuA_X0_I0+6+0+0+1], a[12:15]
/*  mfmaIndex:4  */
_ds_load_b64 v[vgprValuA_X1_I0+4:vgprValuA_X1_I0+4+1], v[vgprLocalReadAddrA] offset:4384 // L -> Reg lro=16 swapByteOffset=0 ti=16 vIdx=2 rIdx=0 oIdx=0 buffer=1 iui=0
	;; [unrolled: 3-line block ×8, first 2 shown]
v_mfma_f32_16x16x16_f16 a[64+0:67+0], v[vgprValuB_X0_I0+2+0+0:vgprValuB_X0_I0+2+0+0+1], v[vgprValuA_X0_I0+14+0+0:vgprValuA_X0_I0+14+0+0+1], a[64:67]
/*  mfmaIndex:11  */
_ds_load_b64 v[vgprValuB_X1_I0+2:vgprValuB_X1_I0+2+1], v[vgprLocalReadAddrB] offset:9248 // L -> Reg lro=16 swapByteOffset=0 ti=64 vIdx=1 rIdx=0 oIdx=0 buffer=1 iui=0
v_mfma_f32_16x16x16_f16 a[60+0:63+0], v[vgprValuB_X0_I0+2+0+0:vgprValuB_X0_I0+2+0+0+1], v[vgprValuA_X0_I0+12+0+0:vgprValuA_X0_I0+12+0+0+1], a[60:63]
/*  mfmaIndex:12  */
_ds_load_b64 v[vgprValuB_X1_I0+4:vgprValuB_X1_I0+4+1], v[vgprLocalReadAddrB] offset:18464 // L -> Reg lro=16 swapByteOffset=0 ti=64 vIdx=2 rIdx=0 oIdx=0 buffer=1 iui=0
v_mfma_f32_16x16x16_f16 a[56+0:59+0], v[vgprValuB_X0_I0+2+0+0:vgprValuB_X0_I0+2+0+0+1], v[vgprValuA_X0_I0+10+0+0:vgprValuA_X0_I0+10+0+0+1], a[56:59]
/*  mfmaIndex:13  */
/* localReadsVacancy: latencyLeft 2 */
v_mfma_f32_16x16x16_f16 a[52+0:55+0], v[vgprValuB_X0_I0+2+0+0:vgprValuB_X0_I0+2+0+0+1], v[vgprValuA_X0_I0+8+0+0:vgprValuA_X0_I0+8+0+0+1], a[52:55]
/*  mfmaIndex:14  */
/* localReadsVacancy: latencyLeft 2 */
	;; [unrolled: 3-line block ×14, first 2 shown]
v_mfma_f32_16x16x16_f16 a[104+0:107+0], v[vgprValuB_X0_I0+4+0+0:vgprValuB_X0_I0+4+0+0+1], v[vgprValuA_X0_I0+16+0+0:vgprValuA_X0_I0+16+0+0+1], a[104:107]
/* numPrefetchIter=0 */
/* dataAtIterA=-1 numReadsIterA=1 skipReadsIterA=1 readsPerIterA=9 */
/* dataAtIterB=-1 numReadsIterB=1 skipReadsIterB=1 readsPerIterB=3 */


/* iter 1 (last unrolled loop) */

/*  grEndMfmaIndex:0, lwStartMfmaIndex:86, lwEndMfmaIndex:86  */
/*  numMfmaForLR:16, barrierMfmaIndex:91, LocalWritePerMfma:1.665 */
/*  mfmaIndex:27  */
_ds_load_b64 v[vgprValuA_X0_I0+0:vgprValuA_X0_I0+0+1], v[vgprLocalReadAddrA] offset:64 // L -> Reg lro=32 swapByteOffset=0 ti=16 vIdx=0 rIdx=0 oIdx=0 buffer=0 iui=0
s_waitcnt lgkmcnt(1)                               // lgkmcnt=0 vmcnt=-1wait for prior local read local write old=0, new=1 newLW=0 newLR=1
v_mfma_f32_16x16x16_f16 a[0+0:3+0], v[vgprValuB_X1_I0+0+0+0:vgprValuB_X1_I0+0+0+0+1], v[vgprValuA_X1_I0+0+0+0:vgprValuA_X1_I0+0+0+0+1], a[0:3]
/*  mfmaIndex:28  */
_ds_load_b64 v[vgprValuB_X0_I0+0:vgprValuB_X0_I0+0+1], v[vgprLocalReadAddrB] offset:64 // L -> Reg lro=32 swapByteOffset=0 ti=64 vIdx=0 rIdx=0 oIdx=0 buffer=0 iui=0
v_mfma_f32_16x16x16_f16 a[4+0:7+0], v[vgprValuB_X1_I0+0+0+0:vgprValuB_X1_I0+0+0+0+1], v[vgprValuA_X1_I0+2+0+0:vgprValuA_X1_I0+2+0+0+1], a[4:7]
/*  mfmaIndex:29  */
_ds_load_b64 v[vgprValuA_X0_I0+2:vgprValuA_X0_I0+2+1], v[vgprLocalReadAddrA] offset:2240 // L -> Reg lro=32 swapByteOffset=0 ti=16 vIdx=1 rIdx=0 oIdx=0 buffer=0 iui=0
v_mfma_f32_16x16x16_f16 a[8+0:11+0], v[vgprValuB_X1_I0+0+0+0:vgprValuB_X1_I0+0+0+0+1], v[vgprValuA_X1_I0+4+0+0:vgprValuA_X1_I0+4+0+0+1], a[8:11]
/*  mfmaIndex:30  */
_ds_load_b64 v[vgprValuA_X0_I0+4:vgprValuA_X0_I0+4+1], v[vgprLocalReadAddrA] offset:4416 // L -> Reg lro=32 swapByteOffset=0 ti=16 vIdx=2 rIdx=0 oIdx=0 buffer=0 iui=0
	;; [unrolled: 3-line block ×8, first 2 shown]
v_mfma_f32_16x16x16_f16 a[68+0:71+0], v[vgprValuB_X1_I0+2+0+0:vgprValuB_X1_I0+2+0+0+1], v[vgprValuA_X1_I0+16+0+0:vgprValuA_X1_I0+16+0+0+1], a[68:71]
/*  mfmaIndex:37  */
_ds_load_b64 v[vgprValuB_X0_I0+2:vgprValuB_X0_I0+2+1], v[vgprLocalReadAddrB] offset:9280 // L -> Reg lro=32 swapByteOffset=0 ti=64 vIdx=1 rIdx=0 oIdx=0 buffer=0 iui=0
v_mfma_f32_16x16x16_f16 a[64+0:67+0], v[vgprValuB_X1_I0+2+0+0:vgprValuB_X1_I0+2+0+0+1], v[vgprValuA_X1_I0+14+0+0:vgprValuA_X1_I0+14+0+0+1], a[64:67]
/*  mfmaIndex:38  */
_ds_load_b64 v[vgprValuB_X0_I0+4:vgprValuB_X0_I0+4+1], v[vgprLocalReadAddrB] offset:18496 // L -> Reg lro=32 swapByteOffset=0 ti=64 vIdx=2 rIdx=0 oIdx=0 buffer=0 iui=0
v_mfma_f32_16x16x16_f16 a[60+0:63+0], v[vgprValuB_X1_I0+2+0+0:vgprValuB_X1_I0+2+0+0+1], v[vgprValuA_X1_I0+12+0+0:vgprValuA_X1_I0+12+0+0+1], a[60:63]
/*  mfmaIndex:39  */
/* localReadsVacancy: latencyLeft 2 */
v_mfma_f32_16x16x16_f16 a[56+0:59+0], v[vgprValuB_X1_I0+2+0+0:vgprValuB_X1_I0+2+0+0+1], v[vgprValuA_X1_I0+10+0+0:vgprValuA_X1_I0+10+0+0+1], a[56:59]
/*  mfmaIndex:40  */
/* localReadsVacancy: latencyLeft 2 */
	;; [unrolled: 3-line block ×15, first 2 shown]
v_mfma_f32_16x16x16_f16 a[104+0:107+0], v[vgprValuB_X1_I0+4+0+0:vgprValuB_X1_I0+4+0+0+1], v[vgprValuA_X1_I0+16+0+0:vgprValuA_X1_I0+16+0+0+1], a[104:107]
/* numPrefetchIter=0 */
/* dataAtIterA=0 numReadsIterA=2 skipReadsIterA=1 readsPerIterA=9 */
/* dataAtIterB=0 numReadsIterB=2 skipReadsIterB=1 readsPerIterB=3 */


/* iter 2 (last unrolled loop) */

/*  grEndMfmaIndex:0, lwStartMfmaIndex:86, lwEndMfmaIndex:86  */
/*  numMfmaForLR:16, barrierMfmaIndex:91, LocalWritePerMfma:1.665 */
/*  mfmaIndex:54  */
_ds_load_b64 v[vgprValuA_X1_I0+0:vgprValuA_X1_I0+0+1], v[vgprLocalReadAddrA] offset:96 // L -> Reg lro=48 swapByteOffset=0 ti=16 vIdx=0 rIdx=0 oIdx=0 buffer=1 iui=0
s_waitcnt lgkmcnt(1)                               // lgkmcnt=0 vmcnt=-1wait for prior local read local write old=0, new=1 newLW=0 newLR=1
v_mfma_f32_16x16x16_f16 a[0+0:3+0], v[vgprValuB_X0_I0+0+0+0:vgprValuB_X0_I0+0+0+0+1], v[vgprValuA_X0_I0+0+0+0:vgprValuA_X0_I0+0+0+0+1], a[0:3]
/*  mfmaIndex:55  */
_ds_load_b64 v[vgprValuB_X1_I0+0:vgprValuB_X1_I0+0+1], v[vgprLocalReadAddrB] offset:96 // L -> Reg lro=48 swapByteOffset=0 ti=64 vIdx=0 rIdx=0 oIdx=0 buffer=1 iui=0
v_mfma_f32_16x16x16_f16 a[4+0:7+0], v[vgprValuB_X0_I0+0+0+0:vgprValuB_X0_I0+0+0+0+1], v[vgprValuA_X0_I0+2+0+0:vgprValuA_X0_I0+2+0+0+1], a[4:7]
/*  mfmaIndex:56  */
_ds_load_b64 v[vgprValuA_X1_I0+2:vgprValuA_X1_I0+2+1], v[vgprLocalReadAddrA] offset:2272 // L -> Reg lro=48 swapByteOffset=0 ti=16 vIdx=1 rIdx=0 oIdx=0 buffer=1 iui=0
v_mfma_f32_16x16x16_f16 a[8+0:11+0], v[vgprValuB_X0_I0+0+0+0:vgprValuB_X0_I0+0+0+0+1], v[vgprValuA_X0_I0+4+0+0:vgprValuA_X0_I0+4+0+0+1], a[8:11]
/*  mfmaIndex:57  */
_ds_load_b64 v[vgprValuA_X1_I0+4:vgprValuA_X1_I0+4+1], v[vgprLocalReadAddrA] offset:4448 // L -> Reg lro=48 swapByteOffset=0 ti=16 vIdx=2 rIdx=0 oIdx=0 buffer=1 iui=0
	;; [unrolled: 3-line block ×8, first 2 shown]
v_mfma_f32_16x16x16_f16 a[68+0:71+0], v[vgprValuB_X0_I0+2+0+0:vgprValuB_X0_I0+2+0+0+1], v[vgprValuA_X0_I0+16+0+0:vgprValuA_X0_I0+16+0+0+1], a[68:71]
/*  mfmaIndex:64  */
_ds_load_b64 v[vgprValuB_X1_I0+2:vgprValuB_X1_I0+2+1], v[vgprLocalReadAddrB] offset:9312 // L -> Reg lro=48 swapByteOffset=0 ti=64 vIdx=1 rIdx=0 oIdx=0 buffer=1 iui=0
v_mfma_f32_16x16x16_f16 a[64+0:67+0], v[vgprValuB_X0_I0+2+0+0:vgprValuB_X0_I0+2+0+0+1], v[vgprValuA_X0_I0+14+0+0:vgprValuA_X0_I0+14+0+0+1], a[64:67]
/*  mfmaIndex:65  */
_ds_load_b64 v[vgprValuB_X1_I0+4:vgprValuB_X1_I0+4+1], v[vgprLocalReadAddrB] offset:18528 // L -> Reg lro=48 swapByteOffset=0 ti=64 vIdx=2 rIdx=0 oIdx=0 buffer=1 iui=0
v_mfma_f32_16x16x16_f16 a[60+0:63+0], v[vgprValuB_X0_I0+2+0+0:vgprValuB_X0_I0+2+0+0+1], v[vgprValuA_X0_I0+12+0+0:vgprValuA_X0_I0+12+0+0+1], a[60:63]
/*  mfmaIndex:66  */
/* localReadsVacancy: latencyLeft 2 */
v_mfma_f32_16x16x16_f16 a[56+0:59+0], v[vgprValuB_X0_I0+2+0+0:vgprValuB_X0_I0+2+0+0+1], v[vgprValuA_X0_I0+10+0+0:vgprValuA_X0_I0+10+0+0+1], a[56:59]
/*  mfmaIndex:67  */
/* localReadsVacancy: latencyLeft 2 */
	;; [unrolled: 3-line block ×15, first 2 shown]
v_mfma_f32_16x16x16_f16 a[104+0:107+0], v[vgprValuB_X0_I0+4+0+0:vgprValuB_X0_I0+4+0+0+1], v[vgprValuA_X0_I0+16+0+0:vgprValuA_X0_I0+16+0+0+1], a[104:107]
/* numPrefetchIter=0 */
/* dataAtIterA=1 numReadsIterA=3 skipReadsIterA=1 readsPerIterA=9 */
/* dataAtIterB=1 numReadsIterB=3 skipReadsIterB=1 readsPerIterB=3 */


/* iter 3 (last unrolled loop) */

/*  grEndMfmaIndex:0, lwStartMfmaIndex:86, lwEndMfmaIndex:86  */
/*  numMfmaForLR:16, barrierMfmaIndex:91, LocalWritePerMfma:1.665 */
/*  mfmaIndex:81  */
s_waitcnt lgkmcnt(0)                               // lgkmcnt=0 vmcnt=-1wait for prior local read local write old=0, new=0 newLW=0 newLR=0
v_mfma_f32_16x16x16_f16 a[0+0:3+0], v[vgprValuB_X1_I0+0+0+0:vgprValuB_X1_I0+0+0+0+1], v[vgprValuA_X1_I0+0+0+0:vgprValuA_X1_I0+0+0+0+1], a[0:3]
/*  mfmaIndex:82  */
v_mfma_f32_16x16x16_f16 a[4+0:7+0], v[vgprValuB_X1_I0+0+0+0:vgprValuB_X1_I0+0+0+0+1], v[vgprValuA_X1_I0+2+0+0:vgprValuA_X1_I0+2+0+0+1], a[4:7]
/*  mfmaIndex:83  */
v_mfma_f32_16x16x16_f16 a[8+0:11+0], v[vgprValuB_X1_I0+0+0+0:vgprValuB_X1_I0+0+0+0+1], v[vgprValuA_X1_I0+4+0+0:vgprValuA_X1_I0+4+0+0+1], a[8:11]
/*  mfmaIndex:84  */
v_mfma_f32_16x16x16_f16 a[12+0:15+0], v[vgprValuB_X1_I0+0+0+0:vgprValuB_X1_I0+0+0+0+1], v[vgprValuA_X1_I0+6+0+0:vgprValuA_X1_I0+6+0+0+1], a[12:15]
/*  mfmaIndex:85  */
/* 1 LDS buffer: read-sync-write */
s_waitcnt lgkmcnt(0)                               // 
s_barrier                                          // 
v_mfma_f32_16x16x16_f16 a[16+0:19+0], v[vgprValuB_X1_I0+0+0+0:vgprValuB_X1_I0+0+0+0+1], v[vgprValuA_X1_I0+8+0+0:vgprValuA_X1_I0+8+0+0+1], a[16:19]
/*  mfmaIndex:86  */
s_setprio 3                                        // store optimization
v_mfma_f32_16x16x16_f16 a[20+0:23+0], v[vgprValuB_X1_I0+0+0+0:vgprValuB_X1_I0+0+0+0+1], v[vgprValuA_X1_I0+10+0+0:vgprValuA_X1_I0+10+0+0+1], a[20:23]
/*  mfmaIndex:87  */
v_mfma_f32_16x16x16_f16 a[24+0:27+0], v[vgprValuB_X1_I0+0+0+0:vgprValuB_X1_I0+0+0+0+1], v[vgprValuA_X1_I0+12+0+0:vgprValuA_X1_I0+12+0+0+1], a[24:27]
/*  mfmaIndex:88  */
	;; [unrolled: 2-line block ×4, first 2 shown]
v_mfma_f32_16x16x16_f16 a[68+0:71+0], v[vgprValuB_X1_I0+2+0+0:vgprValuB_X1_I0+2+0+0+1], v[vgprValuA_X1_I0+16+0+0:vgprValuA_X1_I0+16+0+0+1], a[68:71]
s_setprio 0                                        // store optimization
/*  mfmaIndex:91  */
v_mfma_f32_16x16x16_f16 a[64+0:67+0], v[vgprValuB_X1_I0+2+0+0:vgprValuB_X1_I0+2+0+0+1], v[vgprValuA_X1_I0+14+0+0:vgprValuA_X1_I0+14+0+0+1], a[64:67]
/*  mfmaIndex:92  */
s_setprio 3                                        // store optimization
v_mfma_f32_16x16x16_f16 a[60+0:63+0], v[vgprValuB_X1_I0+2+0+0:vgprValuB_X1_I0+2+0+0+1], v[vgprValuA_X1_I0+12+0+0:vgprValuA_X1_I0+12+0+0+1], a[60:63]
/*  mfmaIndex:93  */
v_mfma_f32_16x16x16_f16 a[56+0:59+0], v[vgprValuB_X1_I0+2+0+0:vgprValuB_X1_I0+2+0+0+1], v[vgprValuA_X1_I0+10+0+0:vgprValuA_X1_I0+10+0+0+1], a[56:59]
/*  mfmaIndex:94  */
	;; [unrolled: 2-line block ×15, first 2 shown]
v_mfma_f32_16x16x16_f16 a[104+0:107+0], v[vgprValuB_X1_I0+4+0+0:vgprValuB_X1_I0+4+0+0+1], v[vgprValuA_X1_I0+16+0+0:vgprValuA_X1_I0+16+0+0+1], a[104:107]
/* numPrefetchIter=0 */
/* dataAtIterA=2 numReadsIterA=3 skipReadsIterA=0 readsPerIterA=9 */
/* dataAtIterB=2 numReadsIterB=3 skipReadsIterB=0 readsPerIterB=3 */

/* Stores for OptNLL */
Summation_End_OptNLL_18:
s_setprio 0                                        // optimization store
/* endSummation: add vgpr [0...94) to pool */
.set NumFullBlocks, UNDEF
.set WgmRemainder1, UNDEF
.set MagicNumberWgmRemainder1, UNDEF
.set ScalarGlobalReadOffsetA, UNDEF

/* Mapping of Acc register -> C Vgpr register */
/* computeStoreVgprs */
v_lshrrev_b32 v4, 6, v[vgprSerial]                 // v4 = v[vgprSerial] / 64
v_and_b32 v1, 63, v[vgprSerial]                    // v1 = v[vgprSerial] % 64
v_lshrrev_b32 v1, 4, v1                            // v1 = v1 / 16
v_lshlrev_b32 v1, 0x2, v1                          // thread0 * continuous_output
v_lshrrev_b32 v5, 0, v4                            // v5 = v4 / 1
v_mul_lo_u32 v5, 0x10, v5                          // wave coordination offset 1
_v_add_lshl_u32 v1, v5, v1, 0                      // coordination 1 = vwb *(wave_id1 + tid1)
v_mul_lo_u32 v2, v1, s[sgprStrideC1J]              //  offset 1
v_mul_lo_u32 v3, v1, s[sgprStrideD1J]              //  offset 1
v_and_b32 v5, 0, v4                                // v5 = v4 % 1
v_and_b32 v0, 15, v[vgprSerial]                    // v0 = v[vgprSerial] % 16
_v_add_lshl_u32 v0, v5, v0, 0                      // coordination 0 = vwa *(wave_id0 + tid0)
s_mul_i32 s52, 144, s[sgprWorkGroup0]              // wgp0 * MT0
_v_add_u32 v0, s52, v0                             // coord 0 = (tid0/MI_m)*4 + waveG0*MIB_m + MT0*SG0
s_mul_i32 s52, 192, s[sgprWorkGroup1]              // wgp1 * MT1
_v_add_u32 v1, s52, v1                             // coord 1 = (tid0%MI_m) + waveG1*MIB_n + MT1*SG1
GW_B0_E0_21:

/* edge=0, allocate 2 sgpr. perBatchTmpS=2 perBatchMaskS=0 perElementMaskS=0 elementsPerBatch=244 */
/* optSingleColVgpr=1 optSharedColVgpr=0 optSGPRUsage=BufferLoad_Mask optSrdIncForRow=1 */

/******************************************/
/* Global Write Batch #0 (d1,d0,vc1,vc0) = */
/*    (0,0,0,0:vw1); (0,1,0,0:vw1); (0,2,0,0:vw1); (0,3,0,0:vw1); (0,4,0,0:vw1); (0,5,0,0:vw1); (0,6,0,0:vw1); (0,7,0,0:vw1); (0,8,0,0:vw1); (0,0,1,0:vw1); (0,1,1,0:vw1); (0,2,1,0:vw1); (0,3,1,0:vw1); (0,4,1,0:vw1); (0,5,1,0:vw1); (0,6,1,0:vw1); (0,7,1,0:vw1); (0,8,1,0:vw1); (0,0,2,0:vw1); (0,1,2,0:vw1); (0,2,2,0:vw1); (0,3,2,0:vw1); (0,4,2,0:vw1); (0,5,2,0:vw1); (0,6,2,0:vw1); (0,7,2,0:vw1); (0,8,2,0:vw1); (0,0,3,0:vw1); (0,1,3,0:vw1); (0,2,3,0:vw1); (0,3,3,0:vw1); (0,4,3,0:vw1); (0,5,3,0:vw1); (0,6,3,0:vw1); (0,7,3,0:vw1); (0,8,3,0:vw1); (1,0,0,0:vw1); (1,1,0,0:vw1); (1,2,0,0:vw1); (1,3,0,0:vw1); (1,4,0,0:vw1); (1,5,0,0:vw1); (1,6,0,0:vw1); (1,7,0,0:vw1); (1,8,0,0:vw1); (1,0,1,0:vw1); (1,1,1,0:vw1); (1,2,1,0:vw1); (1,3,1,0:vw1); (1,4,1,0:vw1); (1,5,1,0:vw1); (1,6,1,0:vw1); (1,7,1,0:vw1); (1,8,1,0:vw1); (1,0,2,0:vw1); (1,1,2,0:vw1); (1,2,2,0:vw1); (1,3,2,0:vw1); (1,4,2,0:vw1); (1,5,2,0:vw1); (1,6,2,0:vw1); (1,7,2,0:vw1); (1,8,2,0:vw1); (1,0,3,0:vw1); (1,1,3,0:vw1); (1,2,3,0:vw1); (1,3,3,0:vw1); (1,4,3,0:vw1); (1,5,3,0:vw1); (1,6,3,0:vw1); (1,7,3,0:vw1); (1,8,3,0:vw1); (2,0,0,0:vw1); (2,1,0,0:vw1); (2,2,0,0:vw1); (2,3,0,0:vw1); (2,4,0,0:vw1); (2,5,0,0:vw1); (2,6,0,0:vw1); (2,7,0,0:vw1); (2,8,0,0:vw1); (2,0,1,0:vw1); (2,1,1,0:vw1); (2,2,1,0:vw1); (2,3,1,0:vw1); (2,4,1,0:vw1); (2,5,1,0:vw1); (2,6,1,0:vw1); (2,7,1,0:vw1); (2,8,1,0:vw1); (2,0,2,0:vw1); (2,1,2,0:vw1); (2,2,2,0:vw1); (2,3,2,0:vw1); (2,4,2,0:vw1); (2,5,2,0:vw1); (2,6,2,0:vw1); (2,7,2,0:vw1); (2,8,2,0:vw1); (2,0,3,0:vw1); (2,1,3,0:vw1); (2,2,3,0:vw1); (2,3,3,0:vw1); (2,4,3,0:vw1); (2,5,3,0:vw1); (2,6,3,0:vw1); (2,7,3,0:vw1); (2,8,3,0:vw1) */
/******************************************/

/* calc coords, apply mask, and issue loads (if necessary) */
/* (d1,vc1,d0,vc0)=(0,0,0,0) */
/* (d1,vc1,d0,vc0)=(0,0,1,0) */
	;; [unrolled: 1-line block ×108, first 2 shown]
_v_add_lshl_u32 v6, v3, v0, 0x1                    // optSingleColVgpr scaleToBpe: sharedAddrVgpr <- cinRowPtr + coord0, scaled by BPE. BSHERE:coord0=0, coord0Vgpr=0
v_accvgpr_read_b32 v[vgprValuC+8], acc0 // copy acc to vreg[0]
v_accvgpr_read_b32 v[vgprValuC+9], acc4 // copy acc to vreg[1]
v_accvgpr_read_b32 v[vgprValuC+10], acc8 // copy acc to vreg[2]
v_accvgpr_read_b32 v[vgprValuC+11], acc12 // copy acc to vreg[3]
v_accvgpr_read_b32 v[vgprValuC+12], acc16 // copy acc to vreg[4]
v_accvgpr_read_b32 v[vgprValuC+13], acc20 // copy acc to vreg[5]
v_accvgpr_read_b32 v[vgprValuC+14], acc24 // copy acc to vreg[6]
v_accvgpr_read_b32 v[vgprValuC+15], acc28 // copy acc to vreg[7]
v_accvgpr_read_b32 v[vgprValuC+16], acc32 // copy acc to vreg[8]
v_accvgpr_read_b32 v[vgprValuC+17], acc1 // copy acc to vreg[9]
v_accvgpr_read_b32 v[vgprValuC+18], acc5 // copy acc to vreg[10]
v_accvgpr_read_b32 v[vgprValuC+19], acc9 // copy acc to vreg[11]
v_accvgpr_read_b32 v[vgprValuC+20], acc13 // copy acc to vreg[12]
v_accvgpr_read_b32 v[vgprValuC+21], acc17 // copy acc to vreg[13]
v_accvgpr_read_b32 v[vgprValuC+22], acc21 // copy acc to vreg[14]
v_accvgpr_read_b32 v[vgprValuC+23], acc25 // copy acc to vreg[15]
v_accvgpr_read_b32 v[vgprValuC+24], acc29 // copy acc to vreg[16]
v_accvgpr_read_b32 v[vgprValuC+25], acc33 // copy acc to vreg[17]
v_accvgpr_read_b32 v[vgprValuC+26], acc2 // copy acc to vreg[18]
v_accvgpr_read_b32 v[vgprValuC+27], acc6 // copy acc to vreg[19]
v_accvgpr_read_b32 v[vgprValuC+28], acc10 // copy acc to vreg[20]
v_accvgpr_read_b32 v[vgprValuC+29], acc14 // copy acc to vreg[21]
v_accvgpr_read_b32 v[vgprValuC+30], acc18 // copy acc to vreg[22]
v_accvgpr_read_b32 v[vgprValuC+31], acc22 // copy acc to vreg[23]
v_accvgpr_read_b32 v[vgprValuC+32], acc26 // copy acc to vreg[24]
v_accvgpr_read_b32 v[vgprValuC+33], acc30 // copy acc to vreg[25]
v_accvgpr_read_b32 v[vgprValuC+34], acc34 // copy acc to vreg[26]
v_accvgpr_read_b32 v[vgprValuC+35], acc3 // copy acc to vreg[27]
v_accvgpr_read_b32 v[vgprValuC+36], acc7 // copy acc to vreg[28]
v_accvgpr_read_b32 v[vgprValuC+37], acc11 // copy acc to vreg[29]
v_accvgpr_read_b32 v[vgprValuC+38], acc15 // copy acc to vreg[30]
v_accvgpr_read_b32 v[vgprValuC+39], acc19 // copy acc to vreg[31]
v_accvgpr_read_b32 v[vgprValuC+40], acc23 // copy acc to vreg[32]
v_accvgpr_read_b32 v[vgprValuC+41], acc27 // copy acc to vreg[33]
v_accvgpr_read_b32 v[vgprValuC+42], acc31 // copy acc to vreg[34]
v_accvgpr_read_b32 v[vgprValuC+43], acc35 // copy acc to vreg[35]
v_accvgpr_read_b32 v[vgprValuC+44], acc36 // copy acc to vreg[36]
v_accvgpr_read_b32 v[vgprValuC+45], acc40 // copy acc to vreg[37]
v_accvgpr_read_b32 v[vgprValuC+46], acc44 // copy acc to vreg[38]
v_accvgpr_read_b32 v[vgprValuC+47], acc48 // copy acc to vreg[39]
v_accvgpr_read_b32 v[vgprValuC+48], acc52 // copy acc to vreg[40]
v_accvgpr_read_b32 v[vgprValuC+49], acc56 // copy acc to vreg[41]
v_accvgpr_read_b32 v[vgprValuC+50], acc60 // copy acc to vreg[42]
v_accvgpr_read_b32 v[vgprValuC+51], acc64 // copy acc to vreg[43]
v_accvgpr_read_b32 v[vgprValuC+52], acc68 // copy acc to vreg[44]
v_accvgpr_read_b32 v[vgprValuC+53], acc37 // copy acc to vreg[45]
v_accvgpr_read_b32 v[vgprValuC+54], acc41 // copy acc to vreg[46]
v_accvgpr_read_b32 v[vgprValuC+55], acc45 // copy acc to vreg[47]
v_accvgpr_read_b32 v[vgprValuC+56], acc49 // copy acc to vreg[48]
v_accvgpr_read_b32 v[vgprValuC+57], acc53 // copy acc to vreg[49]
v_accvgpr_read_b32 v[vgprValuC+58], acc57 // copy acc to vreg[50]
v_accvgpr_read_b32 v[vgprValuC+59], acc61 // copy acc to vreg[51]
v_accvgpr_read_b32 v[vgprValuC+60], acc65 // copy acc to vreg[52]
v_accvgpr_read_b32 v[vgprValuC+61], acc69 // copy acc to vreg[53]
v_accvgpr_read_b32 v[vgprValuC+62], acc38 // copy acc to vreg[54]
v_accvgpr_read_b32 v[vgprValuC+63], acc42 // copy acc to vreg[55]
v_accvgpr_read_b32 v[vgprValuC+64], acc46 // copy acc to vreg[56]
v_accvgpr_read_b32 v[vgprValuC+65], acc50 // copy acc to vreg[57]
v_accvgpr_read_b32 v[vgprValuC+66], acc54 // copy acc to vreg[58]
v_accvgpr_read_b32 v[vgprValuC+67], acc58 // copy acc to vreg[59]
v_accvgpr_read_b32 v[vgprValuC+68], acc62 // copy acc to vreg[60]
v_accvgpr_read_b32 v[vgprValuC+69], acc66 // copy acc to vreg[61]
v_accvgpr_read_b32 v[vgprValuC+70], acc70 // copy acc to vreg[62]
v_accvgpr_read_b32 v[vgprValuC+71], acc39 // copy acc to vreg[63]
v_accvgpr_read_b32 v[vgprValuC+72], acc43 // copy acc to vreg[64]
v_accvgpr_read_b32 v[vgprValuC+73], acc47 // copy acc to vreg[65]
v_accvgpr_read_b32 v[vgprValuC+74], acc51 // copy acc to vreg[66]
v_accvgpr_read_b32 v[vgprValuC+75], acc55 // copy acc to vreg[67]
v_accvgpr_read_b32 v[vgprValuC+76], acc59 // copy acc to vreg[68]
v_accvgpr_read_b32 v[vgprValuC+77], acc63 // copy acc to vreg[69]
v_accvgpr_read_b32 v[vgprValuC+78], acc67 // copy acc to vreg[70]
v_accvgpr_read_b32 v[vgprValuC+79], acc71 // copy acc to vreg[71]
v_accvgpr_read_b32 v[vgprValuC+80], acc72 // copy acc to vreg[72]
v_accvgpr_read_b32 v[vgprValuC+81], acc76 // copy acc to vreg[73]
v_accvgpr_read_b32 v[vgprValuC+82], acc80 // copy acc to vreg[74]
v_accvgpr_read_b32 v[vgprValuC+83], acc84 // copy acc to vreg[75]
v_accvgpr_read_b32 v[vgprValuC+84], acc88 // copy acc to vreg[76]
v_accvgpr_read_b32 v[vgprValuC+85], acc92 // copy acc to vreg[77]
v_accvgpr_read_b32 v[vgprValuC+86], acc96 // copy acc to vreg[78]
v_accvgpr_read_b32 v[vgprValuC+87], acc100 // copy acc to vreg[79]
v_accvgpr_read_b32 v[vgprValuC+88], acc104 // copy acc to vreg[80]
v_accvgpr_read_b32 v[vgprValuC+89], acc73 // copy acc to vreg[81]
v_accvgpr_read_b32 v[vgprValuC+90], acc77 // copy acc to vreg[82]
v_accvgpr_read_b32 v[vgprValuC+91], acc81 // copy acc to vreg[83]
v_accvgpr_read_b32 v[vgprValuC+92], acc85 // copy acc to vreg[84]
v_accvgpr_read_b32 v[vgprValuC+93], acc89 // copy acc to vreg[85]
v_accvgpr_read_b32 v[vgprValuC+97], acc93 // copy acc to vreg[86]
v_accvgpr_read_b32 v[vgprValuC+98], acc97 // copy acc to vreg[87]
v_accvgpr_read_b32 v[vgprValuC+99], acc101 // copy acc to vreg[88]
v_accvgpr_read_b32 v[vgprValuC+100], acc105 // copy acc to vreg[89]
v_accvgpr_read_b32 v[vgprValuC+101], acc74 // copy acc to vreg[90]
v_accvgpr_read_b32 v[vgprValuC+102], acc78 // copy acc to vreg[91]
v_accvgpr_read_b32 v[vgprValuC+103], acc82 // copy acc to vreg[92]
v_accvgpr_read_b32 v[vgprValuC+104], acc86 // copy acc to vreg[93]
v_accvgpr_read_b32 v[vgprValuC+105], acc90 // copy acc to vreg[94]
v_accvgpr_read_b32 v[vgprValuC+106], acc94 // copy acc to vreg[95]
v_accvgpr_read_b32 v[vgprValuC+107], acc98 // copy acc to vreg[96]
v_accvgpr_read_b32 v[vgprValuC+108], acc102 // copy acc to vreg[97]
v_accvgpr_read_b32 v[vgprValuC+109], acc106 // copy acc to vreg[98]
v_accvgpr_read_b32 v[vgprValuC+110], acc75 // copy acc to vreg[99]
v_accvgpr_read_b32 v[vgprValuC+111], acc79 // copy acc to vreg[100]
v_accvgpr_read_b32 v[vgprValuC+112], acc83 // copy acc to vreg[101]
v_accvgpr_read_b32 v[vgprValuC+113], acc87 // copy acc to vreg[102]
v_accvgpr_read_b32 v[vgprValuC+114], acc91 // copy acc to vreg[103]
v_accvgpr_read_b32 v[vgprValuC+115], acc95 // copy acc to vreg[104]
v_accvgpr_read_b32 v[vgprValuC+116], acc99 // copy acc to vreg[105]
v_accvgpr_read_b32 v[vgprValuC+117], acc103 // copy acc to vreg[106]
v_accvgpr_read_b32 v[vgprValuC+118], acc107 // copy acc to vreg[107]
s_nop 1                                            // 2 wait states required before reading vgpr

/* apply mask, calc new C and issue writes */
v_cvt_f16_f32 v[vgprValuC+8], v[vgprValuC+8]       // convert C to fp16
_buffer_store_b16 v8, v6, s[sgprSrdD:sgprSrdD+3], 0, offen, offset:0 // store D
v_cvt_f16_f32 v[vgprValuC+9], v[vgprValuC+9]       // convert C to fp16
_buffer_store_b16 v9, v6, s[sgprSrdD:sgprSrdD+3], 0, offen, offset:32 // store D
v_cvt_f16_f32 v[vgprValuC+10], v[vgprValuC+10]     // convert C to fp16
_buffer_store_b16 v10, v6, s[sgprSrdD:sgprSrdD+3], 0, offen, offset:64 // store D
v_cvt_f16_f32 v[vgprValuC+11], v[vgprValuC+11]     // convert C to fp16
_buffer_store_b16 v11, v6, s[sgprSrdD:sgprSrdD+3], 0, offen, offset:96 // store D
v_cvt_f16_f32 v[vgprValuC+12], v[vgprValuC+12]     // convert C to fp16
_buffer_store_b16 v12, v6, s[sgprSrdD:sgprSrdD+3], 0, offen, offset:128 // store D
v_cvt_f16_f32 v[vgprValuC+13], v[vgprValuC+13]     // convert C to fp16
_buffer_store_b16 v13, v6, s[sgprSrdD:sgprSrdD+3], 0, offen, offset:160 // store D
v_cvt_f16_f32 v[vgprValuC+14], v[vgprValuC+14]     // convert C to fp16
_buffer_store_b16 v14, v6, s[sgprSrdD:sgprSrdD+3], 0, offen, offset:192 // store D
v_cvt_f16_f32 v[vgprValuC+15], v[vgprValuC+15]     // convert C to fp16
_buffer_store_b16 v15, v6, s[sgprSrdD:sgprSrdD+3], 0, offen, offset:224 // store D
v_cvt_f16_f32 v[vgprValuC+16], v[vgprValuC+16]     // convert C to fp16
_buffer_store_b16 v16, v6, s[sgprSrdD:sgprSrdD+3], 0, offen, offset:256 // store D
v_cvt_f16_f32 v[vgprValuC+17], v[vgprValuC+17]     // convert C to fp16
s_lshl_b32  s52, s[sgprStrideD1J], 1               // incToNextRow: Scale by BPE
s_add_u32  s[sgprSrdD+0], s[sgprSrdD+0], s52       // incToNextRow: gra SRD += inc(lower)
s_addc_u32  s[sgprSrdD+1], s[sgprSrdD+1], 0        // incToNextRow: gra SRD += inc(upper)
_buffer_store_b16 v17, v6, s[sgprSrdD:sgprSrdD+3], 0, offen, offset:0 // store D
v_cvt_f16_f32 v[vgprValuC+18], v[vgprValuC+18]     // convert C to fp16
_buffer_store_b16 v18, v6, s[sgprSrdD:sgprSrdD+3], 0, offen, offset:32 // store D
v_cvt_f16_f32 v[vgprValuC+19], v[vgprValuC+19]     // convert C to fp16
_buffer_store_b16 v19, v6, s[sgprSrdD:sgprSrdD+3], 0, offen, offset:64 // store D
v_cvt_f16_f32 v[vgprValuC+20], v[vgprValuC+20]     // convert C to fp16
_buffer_store_b16 v20, v6, s[sgprSrdD:sgprSrdD+3], 0, offen, offset:96 // store D
v_cvt_f16_f32 v[vgprValuC+21], v[vgprValuC+21]     // convert C to fp16
_buffer_store_b16 v21, v6, s[sgprSrdD:sgprSrdD+3], 0, offen, offset:128 // store D
v_cvt_f16_f32 v[vgprValuC+22], v[vgprValuC+22]     // convert C to fp16
_buffer_store_b16 v22, v6, s[sgprSrdD:sgprSrdD+3], 0, offen, offset:160 // store D
v_cvt_f16_f32 v[vgprValuC+23], v[vgprValuC+23]     // convert C to fp16
_buffer_store_b16 v23, v6, s[sgprSrdD:sgprSrdD+3], 0, offen, offset:192 // store D
v_cvt_f16_f32 v[vgprValuC+24], v[vgprValuC+24]     // convert C to fp16
_buffer_store_b16 v24, v6, s[sgprSrdD:sgprSrdD+3], 0, offen, offset:224 // store D
v_cvt_f16_f32 v[vgprValuC+25], v[vgprValuC+25]     // convert C to fp16
_buffer_store_b16 v25, v6, s[sgprSrdD:sgprSrdD+3], 0, offen, offset:256 // store D
v_cvt_f16_f32 v[vgprValuC+26], v[vgprValuC+26]     // convert C to fp16
s_lshl_b32  s52, s[sgprStrideD1J], 1               // incToNextRow: Scale by BPE
s_add_u32  s[sgprSrdD+0], s[sgprSrdD+0], s52       // incToNextRow: gra SRD += inc(lower)
s_addc_u32  s[sgprSrdD+1], s[sgprSrdD+1], 0        // incToNextRow: gra SRD += inc(upper)
_buffer_store_b16 v26, v6, s[sgprSrdD:sgprSrdD+3], 0, offen, offset:0 // store D
v_cvt_f16_f32 v[vgprValuC+27], v[vgprValuC+27]     // convert C to fp16
	;; [unrolled: 21-line block ×3, first 2 shown]
_buffer_store_b16 v36, v6, s[sgprSrdD:sgprSrdD+3], 0, offen, offset:32 // store D
v_cvt_f16_f32 v[vgprValuC+37], v[vgprValuC+37]     // convert C to fp16
_buffer_store_b16 v37, v6, s[sgprSrdD:sgprSrdD+3], 0, offen, offset:64 // store D
v_cvt_f16_f32 v[vgprValuC+38], v[vgprValuC+38]     // convert C to fp16
_buffer_store_b16 v38, v6, s[sgprSrdD:sgprSrdD+3], 0, offen, offset:96 // store D
v_cvt_f16_f32 v[vgprValuC+39], v[vgprValuC+39]     // convert C to fp16
_buffer_store_b16 v39, v6, s[sgprSrdD:sgprSrdD+3], 0, offen, offset:128 // store D
v_cvt_f16_f32 v[vgprValuC+40], v[vgprValuC+40]     // convert C to fp16
_buffer_store_b16 v40, v6, s[sgprSrdD:sgprSrdD+3], 0, offen, offset:160 // store D
v_cvt_f16_f32 v[vgprValuC+41], v[vgprValuC+41]     // convert C to fp16
_buffer_store_b16 v41, v6, s[sgprSrdD:sgprSrdD+3], 0, offen, offset:192 // store D
v_cvt_f16_f32 v[vgprValuC+42], v[vgprValuC+42]     // convert C to fp16
_buffer_store_b16 v42, v6, s[sgprSrdD:sgprSrdD+3], 0, offen, offset:224 // store D
v_cvt_f16_f32 v[vgprValuC+43], v[vgprValuC+43]     // convert C to fp16
_buffer_store_b16 v43, v6, s[sgprSrdD:sgprSrdD+3], 0, offen, offset:256 // store D
v_cvt_f16_f32 v[vgprValuC+44], v[vgprValuC+44]     // convert C to fp16
s_mul_i32 s52, s[sgprStrideD1J], 122               // scale StrideD *= numRows(61) * bpe
s_add_u32  s[sgprSrdD+0], s[sgprSrdD+0], s52       // incToNextRow: gra SRD += inc(lower)
s_addc_u32  s[sgprSrdD+1], s[sgprSrdD+1], 0        // incToNextRow: gra SRD += inc(upper)
_buffer_store_b16 v44, v6, s[sgprSrdD:sgprSrdD+3], 0, offen, offset:0 // store D
v_cvt_f16_f32 v[vgprValuC+45], v[vgprValuC+45]     // convert C to fp16
_buffer_store_b16 v45, v6, s[sgprSrdD:sgprSrdD+3], 0, offen, offset:32 // store D
v_cvt_f16_f32 v[vgprValuC+46], v[vgprValuC+46]     // convert C to fp16
_buffer_store_b16 v46, v6, s[sgprSrdD:sgprSrdD+3], 0, offen, offset:64 // store D
v_cvt_f16_f32 v[vgprValuC+47], v[vgprValuC+47]     // convert C to fp16
_buffer_store_b16 v47, v6, s[sgprSrdD:sgprSrdD+3], 0, offen, offset:96 // store D
v_cvt_f16_f32 v[vgprValuC+48], v[vgprValuC+48]     // convert C to fp16
_buffer_store_b16 v48, v6, s[sgprSrdD:sgprSrdD+3], 0, offen, offset:128 // store D
v_cvt_f16_f32 v[vgprValuC+49], v[vgprValuC+49]     // convert C to fp16
_buffer_store_b16 v49, v6, s[sgprSrdD:sgprSrdD+3], 0, offen, offset:160 // store D
v_cvt_f16_f32 v[vgprValuC+50], v[vgprValuC+50]     // convert C to fp16
_buffer_store_b16 v50, v6, s[sgprSrdD:sgprSrdD+3], 0, offen, offset:192 // store D
v_cvt_f16_f32 v[vgprValuC+51], v[vgprValuC+51]     // convert C to fp16
_buffer_store_b16 v51, v6, s[sgprSrdD:sgprSrdD+3], 0, offen, offset:224 // store D
v_cvt_f16_f32 v[vgprValuC+52], v[vgprValuC+52]     // convert C to fp16
_buffer_store_b16 v52, v6, s[sgprSrdD:sgprSrdD+3], 0, offen, offset:256 // store D
v_cvt_f16_f32 v[vgprValuC+53], v[vgprValuC+53]     // convert C to fp16
s_lshl_b32  s52, s[sgprStrideD1J], 1               // incToNextRow: Scale by BPE
s_add_u32  s[sgprSrdD+0], s[sgprSrdD+0], s52       // incToNextRow: gra SRD += inc(lower)
s_addc_u32  s[sgprSrdD+1], s[sgprSrdD+1], 0        // incToNextRow: gra SRD += inc(upper)
_buffer_store_b16 v53, v6, s[sgprSrdD:sgprSrdD+3], 0, offen, offset:0 // store D
v_cvt_f16_f32 v[vgprValuC+54], v[vgprValuC+54]     // convert C to fp16
_buffer_store_b16 v54, v6, s[sgprSrdD:sgprSrdD+3], 0, offen, offset:32 // store D
v_cvt_f16_f32 v[vgprValuC+55], v[vgprValuC+55]     // convert C to fp16
_buffer_store_b16 v55, v6, s[sgprSrdD:sgprSrdD+3], 0, offen, offset:64 // store D
v_cvt_f16_f32 v[vgprValuC+56], v[vgprValuC+56]     // convert C to fp16
_buffer_store_b16 v56, v6, s[sgprSrdD:sgprSrdD+3], 0, offen, offset:96 // store D
v_cvt_f16_f32 v[vgprValuC+57], v[vgprValuC+57]     // convert C to fp16
_buffer_store_b16 v57, v6, s[sgprSrdD:sgprSrdD+3], 0, offen, offset:128 // store D
v_cvt_f16_f32 v[vgprValuC+58], v[vgprValuC+58]     // convert C to fp16
_buffer_store_b16 v58, v6, s[sgprSrdD:sgprSrdD+3], 0, offen, offset:160 // store D
v_cvt_f16_f32 v[vgprValuC+59], v[vgprValuC+59]     // convert C to fp16
_buffer_store_b16 v59, v6, s[sgprSrdD:sgprSrdD+3], 0, offen, offset:192 // store D
v_cvt_f16_f32 v[vgprValuC+60], v[vgprValuC+60]     // convert C to fp16
_buffer_store_b16 v60, v6, s[sgprSrdD:sgprSrdD+3], 0, offen, offset:224 // store D
v_cvt_f16_f32 v[vgprValuC+61], v[vgprValuC+61]     // convert C to fp16
_buffer_store_b16 v61, v6, s[sgprSrdD:sgprSrdD+3], 0, offen, offset:256 // store D
v_cvt_f16_f32 v[vgprValuC+62], v[vgprValuC+62]     // convert C to fp16
s_lshl_b32  s52, s[sgprStrideD1J], 1               // incToNextRow: Scale by BPE
	;; [unrolled: 21-line block ×3, first 2 shown]
s_add_u32  s[sgprSrdD+0], s[sgprSrdD+0], s52       // incToNextRow: gra SRD += inc(lower)
s_addc_u32  s[sgprSrdD+1], s[sgprSrdD+1], 0        // incToNextRow: gra SRD += inc(upper)
_buffer_store_b16 v71, v6, s[sgprSrdD:sgprSrdD+3], 0, offen, offset:0 // store D
v_cvt_f16_f32 v[vgprValuC+72], v[vgprValuC+72]     // convert C to fp16
_buffer_store_b16 v72, v6, s[sgprSrdD:sgprSrdD+3], 0, offen, offset:32 // store D
v_cvt_f16_f32 v[vgprValuC+73], v[vgprValuC+73]     // convert C to fp16
_buffer_store_b16 v73, v6, s[sgprSrdD:sgprSrdD+3], 0, offen, offset:64 // store D
v_cvt_f16_f32 v[vgprValuC+74], v[vgprValuC+74]     // convert C to fp16
_buffer_store_b16 v74, v6, s[sgprSrdD:sgprSrdD+3], 0, offen, offset:96 // store D
v_cvt_f16_f32 v[vgprValuC+75], v[vgprValuC+75]     // convert C to fp16
_buffer_store_b16 v75, v6, s[sgprSrdD:sgprSrdD+3], 0, offen, offset:128 // store D
v_cvt_f16_f32 v[vgprValuC+76], v[vgprValuC+76]     // convert C to fp16
_buffer_store_b16 v76, v6, s[sgprSrdD:sgprSrdD+3], 0, offen, offset:160 // store D
v_cvt_f16_f32 v[vgprValuC+77], v[vgprValuC+77]     // convert C to fp16
_buffer_store_b16 v77, v6, s[sgprSrdD:sgprSrdD+3], 0, offen, offset:192 // store D
v_cvt_f16_f32 v[vgprValuC+78], v[vgprValuC+78]     // convert C to fp16
_buffer_store_b16 v78, v6, s[sgprSrdD:sgprSrdD+3], 0, offen, offset:224 // store D
v_cvt_f16_f32 v[vgprValuC+79], v[vgprValuC+79]     // convert C to fp16
_buffer_store_b16 v79, v6, s[sgprSrdD:sgprSrdD+3], 0, offen, offset:256 // store D
v_cvt_f16_f32 v[vgprValuC+80], v[vgprValuC+80]     // convert C to fp16
s_mul_i32 s52, s[sgprStrideD1J], 122               // scale StrideD *= numRows(61) * bpe
s_add_u32  s[sgprSrdD+0], s[sgprSrdD+0], s52       // incToNextRow: gra SRD += inc(lower)
s_addc_u32  s[sgprSrdD+1], s[sgprSrdD+1], 0        // incToNextRow: gra SRD += inc(upper)
_buffer_store_b16 v80, v6, s[sgprSrdD:sgprSrdD+3], 0, offen, offset:0 // store D
v_cvt_f16_f32 v[vgprValuC+81], v[vgprValuC+81]     // convert C to fp16
_buffer_store_b16 v81, v6, s[sgprSrdD:sgprSrdD+3], 0, offen, offset:32 // store D
v_cvt_f16_f32 v[vgprValuC+82], v[vgprValuC+82]     // convert C to fp16
	;; [unrolled: 2-line block ×9, first 2 shown]
s_lshl_b32  s52, s[sgprStrideD1J], 1               // incToNextRow: Scale by BPE
s_add_u32  s[sgprSrdD+0], s[sgprSrdD+0], s52       // incToNextRow: gra SRD += inc(lower)
s_addc_u32  s[sgprSrdD+1], s[sgprSrdD+1], 0        // incToNextRow: gra SRD += inc(upper)
_buffer_store_b16 v89, v6, s[sgprSrdD:sgprSrdD+3], 0, offen, offset:0 // store D
v_cvt_f16_f32 v[vgprValuC+90], v[vgprValuC+90]     // convert C to fp16
_buffer_store_b16 v90, v6, s[sgprSrdD:sgprSrdD+3], 0, offen, offset:32 // store D
v_cvt_f16_f32 v[vgprValuC+91], v[vgprValuC+91]     // convert C to fp16
	;; [unrolled: 2-line block ×7, first 2 shown]
_buffer_store_b16 v99, v6, s[sgprSrdD:sgprSrdD+3], 0, offen, offset:224 // store D
v_cvt_f16_f32 v[vgprValuC+100], v[vgprValuC+100]   // convert C to fp16
_buffer_store_b16 v100, v6, s[sgprSrdD:sgprSrdD+3], 0, offen, offset:256 // store D
v_cvt_f16_f32 v[vgprValuC+101], v[vgprValuC+101]   // convert C to fp16
s_lshl_b32  s52, s[sgprStrideD1J], 1               // incToNextRow: Scale by BPE
s_add_u32  s[sgprSrdD+0], s[sgprSrdD+0], s52       // incToNextRow: gra SRD += inc(lower)
s_addc_u32  s[sgprSrdD+1], s[sgprSrdD+1], 0        // incToNextRow: gra SRD += inc(upper)
_buffer_store_b16 v101, v6, s[sgprSrdD:sgprSrdD+3], 0, offen, offset:0 // store D
v_cvt_f16_f32 v[vgprValuC+102], v[vgprValuC+102]   // convert C to fp16
_buffer_store_b16 v102, v6, s[sgprSrdD:sgprSrdD+3], 0, offen, offset:32 // store D
v_cvt_f16_f32 v[vgprValuC+103], v[vgprValuC+103]   // convert C to fp16
	;; [unrolled: 2-line block ×9, first 2 shown]
s_lshl_b32  s52, s[sgprStrideD1J], 1               // incToNextRow: Scale by BPE
s_add_u32  s[sgprSrdD+0], s[sgprSrdD+0], s52       // incToNextRow: gra SRD += inc(lower)
s_addc_u32  s[sgprSrdD+1], s[sgprSrdD+1], 0        // incToNextRow: gra SRD += inc(upper)
_buffer_store_b16 v110, v6, s[sgprSrdD:sgprSrdD+3], 0, offen, offset:0 // store D
v_cvt_f16_f32 v[vgprValuC+111], v[vgprValuC+111]   // convert C to fp16
_buffer_store_b16 v111, v6, s[sgprSrdD:sgprSrdD+3], 0, offen, offset:32 // store D
v_cvt_f16_f32 v[vgprValuC+112], v[vgprValuC+112]   // convert C to fp16
	;; [unrolled: 2-line block ×8, first 2 shown]
_buffer_store_b16 v118, v6, s[sgprSrdD:sgprSrdD+3], 0, offen, offset:256 // store D
s_nop 0                                            // 1 wait state required when next inst writes vgprs held by previous dwordx4 store inst
s_branch label_GW_End_23                           // jump to end
label_GW_End_23:

s_endpgm                                           // Kernel End
OptNLL_End_17:


/******************************************/
/* Ord. NoLoadLoop - Begin                                      */
/******************************************/




/* iter 0 (last unrolled loop) */

/*  grEndMfmaIndex:0, lwStartMfmaIndex:86, lwEndMfmaIndex:86  */
/*  numMfmaForLR:16, barrierMfmaIndex:91, LocalWritePerMfma:1.665 */
/*  mfmaIndex:0  */
s_waitcnt lgkmcnt(0)                               // lgkmcnt=0 vmcnt=-1wait for prior local read local write old=0, new=0 newLW=0 newLR=0
v_mfma_f32_16x16x16_f16 a[0+0:3+0], v[vgprValuB_X0_I0+0+0+0:vgprValuB_X0_I0+0+0+0+1], v[vgprValuA_X0_I0+0+0+0:vgprValuA_X0_I0+0+0+0+1], a[0:3]
/*  mfmaIndex:1  */
_ds_load_b64 v[vgprValuA_X1_I0+0:vgprValuA_X1_I0+0+1], v[vgprLocalReadAddrA] offset:32 // L -> Reg lro=16 swapByteOffset=0 ti=16 vIdx=0 rIdx=0 oIdx=0 buffer=1 iui=0
v_mfma_f32_16x16x16_f16 a[4+0:7+0], v[vgprValuB_X0_I0+0+0+0:vgprValuB_X0_I0+0+0+0+1], v[vgprValuA_X0_I0+2+0+0:vgprValuA_X0_I0+2+0+0+1], a[4:7]
/*  mfmaIndex:2  */
_ds_load_b64 v[vgprValuB_X1_I0+0:vgprValuB_X1_I0+0+1], v[vgprLocalReadAddrB] offset:32 // L -> Reg lro=16 swapByteOffset=0 ti=64 vIdx=0 rIdx=0 oIdx=0 buffer=1 iui=0
v_mfma_f32_16x16x16_f16 a[8+0:11+0], v[vgprValuB_X0_I0+0+0+0:vgprValuB_X0_I0+0+0+0+1], v[vgprValuA_X0_I0+4+0+0:vgprValuA_X0_I0+4+0+0+1], a[8:11]
/*  mfmaIndex:3  */
_ds_load_b64 v[vgprValuA_X1_I0+2:vgprValuA_X1_I0+2+1], v[vgprLocalReadAddrA] offset:2208 // L -> Reg lro=16 swapByteOffset=0 ti=16 vIdx=1 rIdx=0 oIdx=0 buffer=1 iui=0
v_mfma_f32_16x16x16_f16 a[12+0:15+0], v[vgprValuB_X0_I0+0+0+0:vgprValuB_X0_I0+0+0+0+1], v[vgprValuA_X0_I0+6+0+0:vgprValuA_X0_I0+6+0+0+1], a[12:15]
/*  mfmaIndex:4  */
_ds_load_b64 v[vgprValuA_X1_I0+4:vgprValuA_X1_I0+4+1], v[vgprLocalReadAddrA] offset:4384 // L -> Reg lro=16 swapByteOffset=0 ti=16 vIdx=2 rIdx=0 oIdx=0 buffer=1 iui=0
	;; [unrolled: 3-line block ×8, first 2 shown]
v_mfma_f32_16x16x16_f16 a[64+0:67+0], v[vgprValuB_X0_I0+2+0+0:vgprValuB_X0_I0+2+0+0+1], v[vgprValuA_X0_I0+14+0+0:vgprValuA_X0_I0+14+0+0+1], a[64:67]
/*  mfmaIndex:11  */
_ds_load_b64 v[vgprValuB_X1_I0+2:vgprValuB_X1_I0+2+1], v[vgprLocalReadAddrB] offset:9248 // L -> Reg lro=16 swapByteOffset=0 ti=64 vIdx=1 rIdx=0 oIdx=0 buffer=1 iui=0
v_mfma_f32_16x16x16_f16 a[60+0:63+0], v[vgprValuB_X0_I0+2+0+0:vgprValuB_X0_I0+2+0+0+1], v[vgprValuA_X0_I0+12+0+0:vgprValuA_X0_I0+12+0+0+1], a[60:63]
/*  mfmaIndex:12  */
_ds_load_b64 v[vgprValuB_X1_I0+4:vgprValuB_X1_I0+4+1], v[vgprLocalReadAddrB] offset:18464 // L -> Reg lro=16 swapByteOffset=0 ti=64 vIdx=2 rIdx=0 oIdx=0 buffer=1 iui=0
v_mfma_f32_16x16x16_f16 a[56+0:59+0], v[vgprValuB_X0_I0+2+0+0:vgprValuB_X0_I0+2+0+0+1], v[vgprValuA_X0_I0+10+0+0:vgprValuA_X0_I0+10+0+0+1], a[56:59]
/*  mfmaIndex:13  */
/* localReadsVacancy: latencyLeft 2 */
v_mfma_f32_16x16x16_f16 a[52+0:55+0], v[vgprValuB_X0_I0+2+0+0:vgprValuB_X0_I0+2+0+0+1], v[vgprValuA_X0_I0+8+0+0:vgprValuA_X0_I0+8+0+0+1], a[52:55]
/*  mfmaIndex:14  */
/* localReadsVacancy: latencyLeft 2 */
	;; [unrolled: 3-line block ×14, first 2 shown]
v_mfma_f32_16x16x16_f16 a[104+0:107+0], v[vgprValuB_X0_I0+4+0+0:vgprValuB_X0_I0+4+0+0+1], v[vgprValuA_X0_I0+16+0+0:vgprValuA_X0_I0+16+0+0+1], a[104:107]
/* numPrefetchIter=0 */
/* dataAtIterA=-1 numReadsIterA=1 skipReadsIterA=1 readsPerIterA=9 */
/* dataAtIterB=-1 numReadsIterB=1 skipReadsIterB=1 readsPerIterB=3 */


/* iter 1 (last unrolled loop) */

/*  grEndMfmaIndex:0, lwStartMfmaIndex:86, lwEndMfmaIndex:86  */
/*  numMfmaForLR:16, barrierMfmaIndex:91, LocalWritePerMfma:1.665 */
/*  mfmaIndex:27  */
_ds_load_b64 v[vgprValuA_X0_I0+0:vgprValuA_X0_I0+0+1], v[vgprLocalReadAddrA] offset:64 // L -> Reg lro=32 swapByteOffset=0 ti=16 vIdx=0 rIdx=0 oIdx=0 buffer=0 iui=0
s_waitcnt lgkmcnt(1)                               // lgkmcnt=0 vmcnt=-1wait for prior local read local write old=0, new=1 newLW=0 newLR=1
v_mfma_f32_16x16x16_f16 a[0+0:3+0], v[vgprValuB_X1_I0+0+0+0:vgprValuB_X1_I0+0+0+0+1], v[vgprValuA_X1_I0+0+0+0:vgprValuA_X1_I0+0+0+0+1], a[0:3]
/*  mfmaIndex:28  */
_ds_load_b64 v[vgprValuB_X0_I0+0:vgprValuB_X0_I0+0+1], v[vgprLocalReadAddrB] offset:64 // L -> Reg lro=32 swapByteOffset=0 ti=64 vIdx=0 rIdx=0 oIdx=0 buffer=0 iui=0
v_mfma_f32_16x16x16_f16 a[4+0:7+0], v[vgprValuB_X1_I0+0+0+0:vgprValuB_X1_I0+0+0+0+1], v[vgprValuA_X1_I0+2+0+0:vgprValuA_X1_I0+2+0+0+1], a[4:7]
/*  mfmaIndex:29  */
_ds_load_b64 v[vgprValuA_X0_I0+2:vgprValuA_X0_I0+2+1], v[vgprLocalReadAddrA] offset:2240 // L -> Reg lro=32 swapByteOffset=0 ti=16 vIdx=1 rIdx=0 oIdx=0 buffer=0 iui=0
v_mfma_f32_16x16x16_f16 a[8+0:11+0], v[vgprValuB_X1_I0+0+0+0:vgprValuB_X1_I0+0+0+0+1], v[vgprValuA_X1_I0+4+0+0:vgprValuA_X1_I0+4+0+0+1], a[8:11]
/*  mfmaIndex:30  */
_ds_load_b64 v[vgprValuA_X0_I0+4:vgprValuA_X0_I0+4+1], v[vgprLocalReadAddrA] offset:4416 // L -> Reg lro=32 swapByteOffset=0 ti=16 vIdx=2 rIdx=0 oIdx=0 buffer=0 iui=0
v_mfma_f32_16x16x16_f16 a[12+0:15+0], v[vgprValuB_X1_I0+0+0+0:vgprValuB_X1_I0+0+0+0+1], v[vgprValuA_X1_I0+6+0+0:vgprValuA_X1_I0+6+0+0+1], a[12:15]
/*  mfmaIndex:31  */
_ds_load_b64 v[vgprValuA_X0_I0+6:vgprValuA_X0_I0+6+1], v[vgprLocalReadAddrA] offset:6592 // L -> Reg lro=32 swapByteOffset=0 ti=16 vIdx=3 rIdx=0 oIdx=0 buffer=0 iui=0
v_mfma_f32_16x16x16_f16 a[16+0:19+0], v[vgprValuB_X1_I0+0+0+0:vgprValuB_X1_I0+0+0+0+1], v[vgprValuA_X1_I0+8+0+0:vgprValuA_X1_I0+8+0+0+1], a[16:19]
/*  mfmaIndex:32  */
_ds_load_b64 v[vgprValuA_X0_I0+8:vgprValuA_X0_I0+8+1], v[vgprLocalReadAddrA] offset:8768 // L -> Reg lro=32 swapByteOffset=0 ti=16 vIdx=4 rIdx=0 oIdx=0 buffer=0 iui=0
v_mfma_f32_16x16x16_f16 a[20+0:23+0], v[vgprValuB_X1_I0+0+0+0:vgprValuB_X1_I0+0+0+0+1], v[vgprValuA_X1_I0+10+0+0:vgprValuA_X1_I0+10+0+0+1], a[20:23]
/*  mfmaIndex:33  */
_ds_load_b64 v[vgprValuA_X0_I0+10:vgprValuA_X0_I0+10+1], v[vgprLocalReadAddrA] offset:10944 // L -> Reg lro=32 swapByteOffset=0 ti=16 vIdx=5 rIdx=0 oIdx=0 buffer=0 iui=0
v_mfma_f32_16x16x16_f16 a[24+0:27+0], v[vgprValuB_X1_I0+0+0+0:vgprValuB_X1_I0+0+0+0+1], v[vgprValuA_X1_I0+12+0+0:vgprValuA_X1_I0+12+0+0+1], a[24:27]
/*  mfmaIndex:34  */
_ds_load_b64 v[vgprValuA_X0_I0+12:vgprValuA_X0_I0+12+1], v[vgprLocalReadAddrA] offset:13120 // L -> Reg lro=32 swapByteOffset=0 ti=16 vIdx=6 rIdx=0 oIdx=0 buffer=0 iui=0
v_mfma_f32_16x16x16_f16 a[28+0:31+0], v[vgprValuB_X1_I0+0+0+0:vgprValuB_X1_I0+0+0+0+1], v[vgprValuA_X1_I0+14+0+0:vgprValuA_X1_I0+14+0+0+1], a[28:31]
/*  mfmaIndex:35  */
_ds_load_b64 v[vgprValuA_X0_I0+14:vgprValuA_X0_I0+14+1], v[vgprLocalReadAddrA] offset:15296 // L -> Reg lro=32 swapByteOffset=0 ti=16 vIdx=7 rIdx=0 oIdx=0 buffer=0 iui=0
v_mfma_f32_16x16x16_f16 a[32+0:35+0], v[vgprValuB_X1_I0+0+0+0:vgprValuB_X1_I0+0+0+0+1], v[vgprValuA_X1_I0+16+0+0:vgprValuA_X1_I0+16+0+0+1], a[32:35]
/*  mfmaIndex:36  */
_ds_load_b64 v[vgprValuA_X0_I0+16:vgprValuA_X0_I0+16+1], v[vgprLocalReadAddrA] offset:17472 // L -> Reg lro=32 swapByteOffset=0 ti=16 vIdx=8 rIdx=0 oIdx=0 buffer=0 iui=0
v_mfma_f32_16x16x16_f16 a[68+0:71+0], v[vgprValuB_X1_I0+2+0+0:vgprValuB_X1_I0+2+0+0+1], v[vgprValuA_X1_I0+16+0+0:vgprValuA_X1_I0+16+0+0+1], a[68:71]
/*  mfmaIndex:37  */
_ds_load_b64 v[vgprValuB_X0_I0+2:vgprValuB_X0_I0+2+1], v[vgprLocalReadAddrB] offset:9280 // L -> Reg lro=32 swapByteOffset=0 ti=64 vIdx=1 rIdx=0 oIdx=0 buffer=0 iui=0
v_mfma_f32_16x16x16_f16 a[64+0:67+0], v[vgprValuB_X1_I0+2+0+0:vgprValuB_X1_I0+2+0+0+1], v[vgprValuA_X1_I0+14+0+0:vgprValuA_X1_I0+14+0+0+1], a[64:67]
/*  mfmaIndex:38  */
_ds_load_b64 v[vgprValuB_X0_I0+4:vgprValuB_X0_I0+4+1], v[vgprLocalReadAddrB] offset:18496 // L -> Reg lro=32 swapByteOffset=0 ti=64 vIdx=2 rIdx=0 oIdx=0 buffer=0 iui=0
v_mfma_f32_16x16x16_f16 a[60+0:63+0], v[vgprValuB_X1_I0+2+0+0:vgprValuB_X1_I0+2+0+0+1], v[vgprValuA_X1_I0+12+0+0:vgprValuA_X1_I0+12+0+0+1], a[60:63]
/*  mfmaIndex:39  */
/* localReadsVacancy: latencyLeft 2 */
v_mfma_f32_16x16x16_f16 a[56+0:59+0], v[vgprValuB_X1_I0+2+0+0:vgprValuB_X1_I0+2+0+0+1], v[vgprValuA_X1_I0+10+0+0:vgprValuA_X1_I0+10+0+0+1], a[56:59]
/*  mfmaIndex:40  */
/* localReadsVacancy: latencyLeft 2 */
	;; [unrolled: 3-line block ×15, first 2 shown]
v_mfma_f32_16x16x16_f16 a[104+0:107+0], v[vgprValuB_X1_I0+4+0+0:vgprValuB_X1_I0+4+0+0+1], v[vgprValuA_X1_I0+16+0+0:vgprValuA_X1_I0+16+0+0+1], a[104:107]
/* numPrefetchIter=0 */
/* dataAtIterA=0 numReadsIterA=2 skipReadsIterA=1 readsPerIterA=9 */
/* dataAtIterB=0 numReadsIterB=2 skipReadsIterB=1 readsPerIterB=3 */


/* iter 2 (last unrolled loop) */

/*  grEndMfmaIndex:0, lwStartMfmaIndex:86, lwEndMfmaIndex:86  */
/*  numMfmaForLR:16, barrierMfmaIndex:91, LocalWritePerMfma:1.665 */
/*  mfmaIndex:54  */
_ds_load_b64 v[vgprValuA_X1_I0+0:vgprValuA_X1_I0+0+1], v[vgprLocalReadAddrA] offset:96 // L -> Reg lro=48 swapByteOffset=0 ti=16 vIdx=0 rIdx=0 oIdx=0 buffer=1 iui=0
s_waitcnt lgkmcnt(1)                               // lgkmcnt=0 vmcnt=-1wait for prior local read local write old=0, new=1 newLW=0 newLR=1
v_mfma_f32_16x16x16_f16 a[0+0:3+0], v[vgprValuB_X0_I0+0+0+0:vgprValuB_X0_I0+0+0+0+1], v[vgprValuA_X0_I0+0+0+0:vgprValuA_X0_I0+0+0+0+1], a[0:3]
/*  mfmaIndex:55  */
_ds_load_b64 v[vgprValuB_X1_I0+0:vgprValuB_X1_I0+0+1], v[vgprLocalReadAddrB] offset:96 // L -> Reg lro=48 swapByteOffset=0 ti=64 vIdx=0 rIdx=0 oIdx=0 buffer=1 iui=0
v_mfma_f32_16x16x16_f16 a[4+0:7+0], v[vgprValuB_X0_I0+0+0+0:vgprValuB_X0_I0+0+0+0+1], v[vgprValuA_X0_I0+2+0+0:vgprValuA_X0_I0+2+0+0+1], a[4:7]
/*  mfmaIndex:56  */
_ds_load_b64 v[vgprValuA_X1_I0+2:vgprValuA_X1_I0+2+1], v[vgprLocalReadAddrA] offset:2272 // L -> Reg lro=48 swapByteOffset=0 ti=16 vIdx=1 rIdx=0 oIdx=0 buffer=1 iui=0
v_mfma_f32_16x16x16_f16 a[8+0:11+0], v[vgprValuB_X0_I0+0+0+0:vgprValuB_X0_I0+0+0+0+1], v[vgprValuA_X0_I0+4+0+0:vgprValuA_X0_I0+4+0+0+1], a[8:11]
/*  mfmaIndex:57  */
_ds_load_b64 v[vgprValuA_X1_I0+4:vgprValuA_X1_I0+4+1], v[vgprLocalReadAddrA] offset:4448 // L -> Reg lro=48 swapByteOffset=0 ti=16 vIdx=2 rIdx=0 oIdx=0 buffer=1 iui=0
	;; [unrolled: 3-line block ×8, first 2 shown]
v_mfma_f32_16x16x16_f16 a[68+0:71+0], v[vgprValuB_X0_I0+2+0+0:vgprValuB_X0_I0+2+0+0+1], v[vgprValuA_X0_I0+16+0+0:vgprValuA_X0_I0+16+0+0+1], a[68:71]
/*  mfmaIndex:64  */
_ds_load_b64 v[vgprValuB_X1_I0+2:vgprValuB_X1_I0+2+1], v[vgprLocalReadAddrB] offset:9312 // L -> Reg lro=48 swapByteOffset=0 ti=64 vIdx=1 rIdx=0 oIdx=0 buffer=1 iui=0
v_mfma_f32_16x16x16_f16 a[64+0:67+0], v[vgprValuB_X0_I0+2+0+0:vgprValuB_X0_I0+2+0+0+1], v[vgprValuA_X0_I0+14+0+0:vgprValuA_X0_I0+14+0+0+1], a[64:67]
/*  mfmaIndex:65  */
_ds_load_b64 v[vgprValuB_X1_I0+4:vgprValuB_X1_I0+4+1], v[vgprLocalReadAddrB] offset:18528 // L -> Reg lro=48 swapByteOffset=0 ti=64 vIdx=2 rIdx=0 oIdx=0 buffer=1 iui=0
v_mfma_f32_16x16x16_f16 a[60+0:63+0], v[vgprValuB_X0_I0+2+0+0:vgprValuB_X0_I0+2+0+0+1], v[vgprValuA_X0_I0+12+0+0:vgprValuA_X0_I0+12+0+0+1], a[60:63]
/*  mfmaIndex:66  */
/* localReadsVacancy: latencyLeft 2 */
v_mfma_f32_16x16x16_f16 a[56+0:59+0], v[vgprValuB_X0_I0+2+0+0:vgprValuB_X0_I0+2+0+0+1], v[vgprValuA_X0_I0+10+0+0:vgprValuA_X0_I0+10+0+0+1], a[56:59]
/*  mfmaIndex:67  */
/* localReadsVacancy: latencyLeft 2 */
	;; [unrolled: 3-line block ×15, first 2 shown]
v_mfma_f32_16x16x16_f16 a[104+0:107+0], v[vgprValuB_X0_I0+4+0+0:vgprValuB_X0_I0+4+0+0+1], v[vgprValuA_X0_I0+16+0+0:vgprValuA_X0_I0+16+0+0+1], a[104:107]
/* numPrefetchIter=0 */
/* dataAtIterA=1 numReadsIterA=3 skipReadsIterA=1 readsPerIterA=9 */
/* dataAtIterB=1 numReadsIterB=3 skipReadsIterB=1 readsPerIterB=3 */


/* iter 3 (last unrolled loop) */

/*  grEndMfmaIndex:0, lwStartMfmaIndex:86, lwEndMfmaIndex:86  */
/*  numMfmaForLR:16, barrierMfmaIndex:91, LocalWritePerMfma:1.665 */
/*  mfmaIndex:81  */
s_waitcnt lgkmcnt(0)                               // lgkmcnt=0 vmcnt=-1wait for prior local read local write old=0, new=0 newLW=0 newLR=0
v_mfma_f32_16x16x16_f16 a[0+0:3+0], v[vgprValuB_X1_I0+0+0+0:vgprValuB_X1_I0+0+0+0+1], v[vgprValuA_X1_I0+0+0+0:vgprValuA_X1_I0+0+0+0+1], a[0:3]
/*  mfmaIndex:82  */
v_mfma_f32_16x16x16_f16 a[4+0:7+0], v[vgprValuB_X1_I0+0+0+0:vgprValuB_X1_I0+0+0+0+1], v[vgprValuA_X1_I0+2+0+0:vgprValuA_X1_I0+2+0+0+1], a[4:7]
/*  mfmaIndex:83  */
	;; [unrolled: 2-line block ×4, first 2 shown]
/* 1 LDS buffer: read-sync-write */
s_waitcnt lgkmcnt(0)                               // 
s_barrier                                          // 
v_mfma_f32_16x16x16_f16 a[16+0:19+0], v[vgprValuB_X1_I0+0+0+0:vgprValuB_X1_I0+0+0+0+1], v[vgprValuA_X1_I0+8+0+0:vgprValuA_X1_I0+8+0+0+1], a[16:19]
/*  mfmaIndex:86  */
s_setprio 3                                        // store optimization
v_mfma_f32_16x16x16_f16 a[20+0:23+0], v[vgprValuB_X1_I0+0+0+0:vgprValuB_X1_I0+0+0+0+1], v[vgprValuA_X1_I0+10+0+0:vgprValuA_X1_I0+10+0+0+1], a[20:23]
/*  mfmaIndex:87  */
v_mfma_f32_16x16x16_f16 a[24+0:27+0], v[vgprValuB_X1_I0+0+0+0:vgprValuB_X1_I0+0+0+0+1], v[vgprValuA_X1_I0+12+0+0:vgprValuA_X1_I0+12+0+0+1], a[24:27]
/*  mfmaIndex:88  */
v_mfma_f32_16x16x16_f16 a[28+0:31+0], v[vgprValuB_X1_I0+0+0+0:vgprValuB_X1_I0+0+0+0+1], v[vgprValuA_X1_I0+14+0+0:vgprValuA_X1_I0+14+0+0+1], a[28:31]
/*  mfmaIndex:89  */
v_mfma_f32_16x16x16_f16 a[32+0:35+0], v[vgprValuB_X1_I0+0+0+0:vgprValuB_X1_I0+0+0+0+1], v[vgprValuA_X1_I0+16+0+0:vgprValuA_X1_I0+16+0+0+1], a[32:35]
/*  mfmaIndex:90  */
v_mfma_f32_16x16x16_f16 a[68+0:71+0], v[vgprValuB_X1_I0+2+0+0:vgprValuB_X1_I0+2+0+0+1], v[vgprValuA_X1_I0+16+0+0:vgprValuA_X1_I0+16+0+0+1], a[68:71]
s_setprio 0                                        // store optimization
/*  mfmaIndex:91  */
v_mfma_f32_16x16x16_f16 a[64+0:67+0], v[vgprValuB_X1_I0+2+0+0:vgprValuB_X1_I0+2+0+0+1], v[vgprValuA_X1_I0+14+0+0:vgprValuA_X1_I0+14+0+0+1], a[64:67]
/*  mfmaIndex:92  */
s_setprio 3                                        // store optimization
v_mfma_f32_16x16x16_f16 a[60+0:63+0], v[vgprValuB_X1_I0+2+0+0:vgprValuB_X1_I0+2+0+0+1], v[vgprValuA_X1_I0+12+0+0:vgprValuA_X1_I0+12+0+0+1], a[60:63]
/*  mfmaIndex:93  */
v_mfma_f32_16x16x16_f16 a[56+0:59+0], v[vgprValuB_X1_I0+2+0+0:vgprValuB_X1_I0+2+0+0+1], v[vgprValuA_X1_I0+10+0+0:vgprValuA_X1_I0+10+0+0+1], a[56:59]
/*  mfmaIndex:94  */
	;; [unrolled: 2-line block ×15, first 2 shown]
v_mfma_f32_16x16x16_f16 a[104+0:107+0], v[vgprValuB_X1_I0+4+0+0:vgprValuB_X1_I0+4+0+0+1], v[vgprValuA_X1_I0+16+0+0:vgprValuA_X1_I0+16+0+0+1], a[104:107]
/* numPrefetchIter=0 */
/* dataAtIterA=2 numReadsIterA=3 skipReadsIterA=0 readsPerIterA=9 */
/* dataAtIterB=2 numReadsIterB=3 skipReadsIterB=0 readsPerIterB=3 */

PrefetchGlobalLastIterEnd_5:


/******************************************/
/* Tail Loop                              */
/******************************************/


/* local write reset offsets a */




/* local write reset offsets b */


	;; [unrolled: 1-line block ×4, first 2 shown]
//numIterL = (((sizeL % LOCAL_DEPTHU) + LOCAL_SPLITU - 1) / LOCAL_SPLITU)
s_and_b32 s[sgprLoopCounterL], 63, s[sgprSizesSum+0] // s[sgprLoopCounterL] = s[sgprSizesSum+0] % 64
s_cmp_eq_u32 s[sgprLoopCounterL], 0x0              // numIterL == 0
s_cbranch_scc1 SkipTailLoopL_8                     // skip to end of tail loop b/c numIter==0
s_mov_b32 s[sgprOrigLoopCounter], 0                // repurpose to count each localRead increment


/* Update M0 for DTLDS */


	;; [unrolled: 1-line block ×3, first 2 shown]
/* global read a */

/* g2l=0, load component 0 */
_buffer_load_d16_b16 v[vgprG2LA+0+0], v[vgprGlobalReadOffsetA+0], s[sgprSrdA:sgprSrdA+3], 0, offen offset:0 // load one buffer value
/* g2l=0, load component 1 */
_buffer_load_d16_hi_b16 v97, v[vgprGlobalReadOffsetA+0], s[sgprSrdA:sgprSrdA+3], 0, offen offset:2 // load one buffer value
s_waitcnt vmcnt(0)
v_or_b32 v[vgprG2LA+0+0], v[vgprG2LA+0+0], v97 // HasEccHalf: pack
/* g2l=1, load component 0 */
_buffer_load_d16_b16 v[vgprG2LA+1+0], v[vgprGlobalReadOffsetA+0], s[sgprSrdA:sgprSrdA+3], s[sgprScalarGlobalReadOffsetA+0], offen offset:0 // load one buffer value
/* g2l=1, load component 1 */
_buffer_load_d16_hi_b16 v97, v[vgprGlobalReadOffsetA+0], s[sgprSrdA:sgprSrdA+3], s[sgprScalarGlobalReadOffsetA+0], offen offset:2 // load one buffer value
s_waitcnt vmcnt(0)
v_or_b32 v[vgprG2LA+1+0], v[vgprG2LA+1+0], v97 // HasEccHalf: pack
/* g2l=2, load component 0 */
_buffer_load_d16_b16 v[vgprG2LA+2+0], v[vgprGlobalReadOffsetA+0], s[sgprSrdA:sgprSrdA+3], s[sgprScalarGlobalReadOffsetA+1], offen offset:0 // load one buffer value
/* g2l=2, load component 1 */
_buffer_load_d16_hi_b16 v97, v[vgprGlobalReadOffsetA+0], s[sgprSrdA:sgprSrdA+3], s[sgprScalarGlobalReadOffsetA+1], offen offset:2 // load one buffer value
	;; [unrolled: 6-line block ×17, first 2 shown]
s_waitcnt vmcnt(0)
v_or_b32 v[vgprG2LA+17+0], v[vgprG2LA+17+0], v97 // HasEccHalf: pack


/* Update M0 for DTLDS */


	;; [unrolled: 1-line block ×3, first 2 shown]
/* global read b */

/* g2l=0, load component 0 */
_buffer_load_d16_b16 v[vgprG2LB+0+0], v[vgprGlobalReadOffsetB+0], s[sgprSrdB:sgprSrdB+3], 0, offen offset:0 // load one buffer value
/* g2l=0, load component 1 */
_buffer_load_d16_hi_b16 v97, v[vgprGlobalReadOffsetB+0], s[sgprSrdB:sgprSrdB+3], 0, offen offset:2 // load one buffer value
s_waitcnt vmcnt(0)
v_or_b32 v[vgprG2LB+0+0], v[vgprG2LB+0+0], v97 // HasEccHalf: pack
/* g2l=0, load component 2 */
_buffer_load_d16_b16 v[vgprG2LB+0+1], v[vgprGlobalReadOffsetB+0], s[sgprSrdB:sgprSrdB+3], 0, offen offset:4 // load one buffer value
/* g2l=0, load component 3 */
_buffer_load_d16_hi_b16 v97, v[vgprGlobalReadOffsetB+0], s[sgprSrdB:sgprSrdB+3], 0, offen offset:6 // load one buffer value
s_waitcnt vmcnt(0)
v_or_b32 v[vgprG2LB+0+1], v[vgprG2LB+0+1], v97 // HasEccHalf: pack
	;; [unrolled: 6-line block ×4, first 2 shown]
/* g2l=4, load component 0 */
_buffer_load_d16_b16 v[vgprG2LB+4+0], v[vgprGlobalReadOffsetB+0], s[sgprSrdB:sgprSrdB+3], s[sgprScalarGlobalReadOffsetB+0], offen offset:0 // load one buffer value
/* g2l=4, load component 1 */
_buffer_load_d16_hi_b16 v97, v[vgprGlobalReadOffsetB+0], s[sgprSrdB:sgprSrdB+3], s[sgprScalarGlobalReadOffsetB+0], offen offset:2 // load one buffer value
s_waitcnt vmcnt(0)
v_or_b32 v[vgprG2LB+4+0], v[vgprG2LB+4+0], v97 // HasEccHalf: pack
/* g2l=4, load component 2 */
_buffer_load_d16_b16 v[vgprG2LB+4+1], v[vgprGlobalReadOffsetB+0], s[sgprSrdB:sgprSrdB+3], s[sgprScalarGlobalReadOffsetB+0], offen offset:4 // load one buffer value
/* g2l=4, load component 3 */
_buffer_load_d16_hi_b16 v97, v[vgprGlobalReadOffsetB+0], s[sgprSrdB:sgprSrdB+3], s[sgprScalarGlobalReadOffsetB+0], offen offset:6 // load one buffer value
s_waitcnt vmcnt(0)
v_or_b32 v[vgprG2LB+4+1], v[vgprG2LB+4+1], v97 // HasEccHalf: pack
	;; [unrolled: 6-line block ×20, first 2 shown]

s_waitcnt vmcnt(0)                                 // lgkmcnt=-1 vmcnt=02wait for global read

// Skip force waitcnt0
s_barrier //


/* Done global A/B reads */


	;; [unrolled: 1-line block ×4, first 2 shown]
/* local write a */

_ds_store_b32 v[vgprLocalWriteAddrA], v[vgprG2LA+0] offset:0 // lwoA_0_0_0_0 = (0*LSCA)*(MT0I+PAD) + (0*LSPA) = 0
_ds_store_b32 v[vgprLocalWriteAddrA], v[vgprG2LA+1] offset:1088 // lwoA_0_0_1_0 = (0*LSCA)*(MT0I+PAD) + (1*LSPA) = 1088
_ds_store_b32 v[vgprLocalWriteAddrA], v[vgprG2LA+2] offset:2176 // lwoA_0_0_2_0 = (0*LSCA)*(MT0I+PAD) + (2*LSPA) = 2176
_ds_store_b32 v[vgprLocalWriteAddrA], v[vgprG2LA+3] offset:3264 // lwoA_0_0_3_0 = (0*LSCA)*(MT0I+PAD) + (3*LSPA) = 3264
_ds_store_b32 v[vgprLocalWriteAddrA], v[vgprG2LA+4] offset:4352 // lwoA_0_0_4_0 = (0*LSCA)*(MT0I+PAD) + (4*LSPA) = 4352
_ds_store_b32 v[vgprLocalWriteAddrA], v[vgprG2LA+5] offset:5440 // lwoA_0_0_5_0 = (0*LSCA)*(MT0I+PAD) + (5*LSPA) = 5440
_ds_store_b32 v[vgprLocalWriteAddrA], v[vgprG2LA+6] offset:6528 // lwoA_0_0_6_0 = (0*LSCA)*(MT0I+PAD) + (6*LSPA) = 6528
_ds_store_b32 v[vgprLocalWriteAddrA], v[vgprG2LA+7] offset:7616 // lwoA_0_0_7_0 = (0*LSCA)*(MT0I+PAD) + (7*LSPA) = 7616
_ds_store_b32 v[vgprLocalWriteAddrA], v[vgprG2LA+8] offset:8704 // lwoA_0_0_8_0 = (0*LSCA)*(MT0I+PAD) + (8*LSPA) = 8704
_ds_store_b32 v[vgprLocalWriteAddrA], v[vgprG2LA+9] offset:9792 // lwoA_0_0_9_0 = (0*LSCA)*(MT0I+PAD) + (9*LSPA) = 9792
_ds_store_b32 v[vgprLocalWriteAddrA], v[vgprG2LA+10] offset:10880 // lwoA_0_0_10_0 = (0*LSCA)*(MT0I+PAD) + (10*LSPA) = 10880
_ds_store_b32 v[vgprLocalWriteAddrA], v[vgprG2LA+11] offset:11968 // lwoA_0_0_11_0 = (0*LSCA)*(MT0I+PAD) + (11*LSPA) = 11968
_ds_store_b32 v[vgprLocalWriteAddrA], v[vgprG2LA+12] offset:13056 // lwoA_0_0_12_0 = (0*LSCA)*(MT0I+PAD) + (12*LSPA) = 13056
_ds_store_b32 v[vgprLocalWriteAddrA], v[vgprG2LA+13] offset:14144 // lwoA_0_0_13_0 = (0*LSCA)*(MT0I+PAD) + (13*LSPA) = 14144
_ds_store_b32 v[vgprLocalWriteAddrA], v[vgprG2LA+14] offset:15232 // lwoA_0_0_14_0 = (0*LSCA)*(MT0I+PAD) + (14*LSPA) = 15232
_ds_store_b32 v[vgprLocalWriteAddrA], v[vgprG2LA+15] offset:16320 // lwoA_0_0_15_0 = (0*LSCA)*(MT0I+PAD) + (15*LSPA) = 16320
_ds_store_b32 v[vgprLocalWriteAddrA], v[vgprG2LA+16] offset:17408 // lwoA_0_0_16_0 = (0*LSCA)*(MT0I+PAD) + (16*LSPA) = 17408
_ds_store_b32 v[vgprLocalWriteAddrA], v[vgprG2LA+17] offset:18496 // lwoA_0_0_17_0 = (0*LSCA)*(MT0I+PAD) + (17*LSPA) = 18496


/* local write b */

_ds_store_b128 v[vgprLocalWriteAddrB], v[vgprG2LB+0:vgprG2LB+0+3] offset:0 // lwoB_0_0_0_0 = (0*LSCB)*(MT1J+PAD) + (0*LSPB) = 0
_ds_store_b128 v[vgprLocalWriteAddrB], v[vgprG2LB+4:vgprG2LB+4+3] offset:4608 // lwoB_0_0_1_0 = (0*LSCB)*(MT1J+PAD) + (1*LSPB) = 4608
_ds_store_b128 v[vgprLocalWriteAddrB], v[vgprG2LB+8:vgprG2LB+8+3] offset:9216 // lwoB_0_0_2_0 = (0*LSCB)*(MT1J+PAD) + (2*LSPB) = 9216
_ds_store_b128 v[vgprLocalWriteAddrB], v[vgprG2LB+12:vgprG2LB+12+3] offset:13824 // lwoB_0_0_3_0 = (0*LSCB)*(MT1J+PAD) + (3*LSPB) = 13824
_ds_store_b128 v[vgprLocalWriteAddrB], v[vgprG2LB+16:vgprG2LB+16+3] offset:18432 // lwoB_0_0_4_0 = (0*LSCB)*(MT1J+PAD) + (4*LSPB) = 18432
_ds_store_b128 v[vgprLocalWriteAddrB], v[vgprG2LB+20:vgprG2LB+20+3] offset:23040 // lwoB_0_0_5_0 = (0*LSCB)*(MT1J+PAD) + (5*LSPB) = 23040


/* Recalc local read offsets */


s_waitcnt lgkmcnt(0)                               // lgkmcnt=0 vmcnt=-15wait for local write

// Skip force waitcnt0
s_barrier //


/* local read reset offsets a */


	;; [unrolled: 1-line block ×3, first 2 shown]
/* local read reset offsets b */


	;; [unrolled: 1-line block ×3, first 2 shown]
/* local read init pointers a */


/* localReadInitPointers */


/* local read init pointers b */


/* localReadInitPointers */


/* tail loop: macs */

TailLoopBeginL_6:


/* tail loop unroll iter 0 */


/* local read a */

_ds_load_b64 v[vgprValuA_X0_I0+0:vgprValuA_X0_I0+0+1], v[vgprLocalReadAddrA] offset:0 // L -> Reg lro=0 swapByteOffset=0 ti=16 vIdx=0 rIdx=0 oIdx=0 buffer=0 iui=0
_ds_load_b64 v[vgprValuA_X0_I0+2:vgprValuA_X0_I0+2+1], v[vgprLocalReadAddrA] offset:2176 // L -> Reg lro=0 swapByteOffset=0 ti=16 vIdx=1 rIdx=0 oIdx=0 buffer=0 iui=0
	;; [unrolled: 1-line block ×9, first 2 shown]


/* local read b */

_ds_load_b64 v[vgprValuB_X0_I0+0:vgprValuB_X0_I0+0+1], v[vgprLocalReadAddrB] offset:0 // L -> Reg lro=0 swapByteOffset=0 ti=64 vIdx=0 rIdx=0 oIdx=0 buffer=0 iui=0
_ds_load_b64 v[vgprValuB_X0_I0+2:vgprValuB_X0_I0+2+1], v[vgprLocalReadAddrB] offset:9216 // L -> Reg lro=0 swapByteOffset=0 ti=64 vIdx=1 rIdx=0 oIdx=0 buffer=0 iui=0
	;; [unrolled: 1-line block ×3, first 2 shown]


/* local read inc a */

s_mov_b32 s55, 0x20                                // inc
_v_add_co_u32 v[vgprLocalReadAddrA], vcc, s55, v[vgprLocalReadAddrA] // lrA += 32 (LSU*bpe)


/* local read inc b */

s_mov_b32 s55, 0x20                                // inc
_v_add_co_u32 v[vgprLocalReadAddrB], vcc, s55, v[vgprLocalReadAddrB] // lrB += 32 (LSU*bpe)

s_waitcnt lgkmcnt(0)                               // lgkmcnt=0 vmcnt=-14wait for local read


	;; [unrolled: 1-line block ×3, first 2 shown]
/* tail loop mfma iter 0: numReadsIterCoalescedA=1, numReadsIterCoalescedB=1 */
v_and_b32 v97, 63, v[vgprSerial]                   // v97 = v[vgprSerial] % 64
v_lshrrev_b32 v97, 4, v97                          // v97 = v97 / 16
v_lshlrev_b32 v97, 0x2, v97                        // v97 = v97 * 4
v_cmp_ge_i32 s[76:77], v97, s[sgprLoopCounterL]    // check K index >= Size L
v_cndmask_b32 v[vgprValuA_X0_I0+0+0+0+0], v[vgprValuA_X0_I0+0+0+0+0], 0x0, s[76:77] // set 0 if K_idx >= sizeL
v_cndmask_b32 v[vgprValuA_X0_I0+2+0+0+0], v[vgprValuA_X0_I0+2+0+0+0], 0x0, s[76:77] // set 0 if K_idx >= sizeL
	;; [unrolled: 1-line block ×9, first 2 shown]
v_cndmask_b32 v[vgprValuB_X0_I0+0+0+0+0], v[vgprValuB_X0_I0+0+0+0+0], 0x0, s[76:77] // set 0 if K_idx >= sizeL
v_cndmask_b32 v[vgprValuB_X0_I0+2+0+0+0], v[vgprValuB_X0_I0+2+0+0+0], 0x0, s[76:77] // set 0 if K_idx >= sizeL
	;; [unrolled: 1-line block ×3, first 2 shown]
v_cndmask_b32 v[vgprValuA_X0_I0+0+0+0+1], v[vgprValuA_X0_I0+0+0+0+1], 0x0, s[76:77] // set 0 if K_idx >= sizeL
v_cndmask_b32 v[vgprValuA_X0_I0+2+0+0+1], v[vgprValuA_X0_I0+2+0+0+1], 0x0, s[76:77] // set 0 if K_idx >= sizeL
	;; [unrolled: 1-line block ×9, first 2 shown]
v_cndmask_b32 v[vgprValuB_X0_I0+0+0+0+1], v[vgprValuB_X0_I0+0+0+0+1], 0x0, s[76:77] // set 0 if K_idx >= sizeL
v_cndmask_b32 v[vgprValuB_X0_I0+2+0+0+1], v[vgprValuB_X0_I0+2+0+0+1], 0x0, s[76:77] // set 0 if K_idx >= sizeL
	;; [unrolled: 1-line block ×3, first 2 shown]
_v_sub_u32 v97, s[sgprLoopCounterL], v97           // get distance between size and k index
v_cmp_lt_i32 s[76:77], v97, 4                      // set partial 0 if distance less than input per thread
s_and_b32 s78, s[sgprLoopCounterL], 3              // get inputs for edge thread
s_sub_u32 s78, 4, s78                              // use shift to fill 0 for outside element
s_lshl_b32 s78, s78, 4                             // use shift to fill 0 for outside element
v_mov_b32 v98, -1                                  // set 0xffffffff
v_mov_b32 v99, -1                                  // set 0xffffffff
v_lshrrev_b64 v[98:99], s78, v[98:99]              // rshift mask for partial k
v_cndmask_b32 v98, -1, v98, s[76:77]               // select shifted mask for partial k
v_cndmask_b32 v99, -1, v99, s[76:77]               // select shifted mask for partial k
v_and_b32 v[vgprValuA_X0_I0+0+0+0+0], v[vgprValuA_X0_I0+0+0+0+0], v98 // 
v_and_b32 v[vgprValuA_X0_I0+0+0+0+1], v[vgprValuA_X0_I0+0+0+0+1], v99 // 
	;; [unrolled: 1-line block ×18, first 2 shown]
v_and_b32 v[vgprValuB_X0_I0+0+0+0+0], v[vgprValuB_X0_I0+0+0+0+0], v98 // 
v_and_b32 v[vgprValuB_X0_I0+0+0+0+1], v[vgprValuB_X0_I0+0+0+0+1], v99 // 
	;; [unrolled: 1-line block ×6, first 2 shown]
s_nop 1
v_mfma_f32_16x16x16_f16 a[0+0:3+0], v[vgprValuB_X0_I0+0+0+0:vgprValuB_X0_I0+0+0+0+1], v[vgprValuA_X0_I0+0+0+0:vgprValuA_X0_I0+0+0+0+1], a[0:3]
v_mfma_f32_16x16x16_f16 a[4+0:7+0], v[vgprValuB_X0_I0+0+0+0:vgprValuB_X0_I0+0+0+0+1], v[vgprValuA_X0_I0+2+0+0:vgprValuA_X0_I0+2+0+0+1], a[4:7]
	;; [unrolled: 1-line block ×27, first 2 shown]


/* closeLoop loopL finalLoop=0 tailLoop=1 */
s_sub_i32 s[sgprLoopCounterL], s[sgprLoopCounterL], 0x10 // dec counterL (tailLoop)
s_add_u32 s[sgprOrigLoopCounter], s[sgprOrigLoopCounter], 0x10 // inc counterL
s_cmp_le_i32 s[sgprLoopCounterL], 0x0              // counterL<=0
s_cbranch_scc1 TailLoopEndL_7                      // exit LoopL


/* tail loop unroll iter 1 */


/* local read a */

_ds_load_b64 v[vgprValuA_X1_I0+0:vgprValuA_X1_I0+0+1], v[vgprLocalReadAddrA] offset:0 // L -> Reg lro=0 swapByteOffset=0 ti=16 vIdx=0 rIdx=0 oIdx=0 buffer=1 iui=0
_ds_load_b64 v[vgprValuA_X1_I0+2:vgprValuA_X1_I0+2+1], v[vgprLocalReadAddrA] offset:2176 // L -> Reg lro=0 swapByteOffset=0 ti=16 vIdx=1 rIdx=0 oIdx=0 buffer=1 iui=0
	;; [unrolled: 1-line block ×9, first 2 shown]


/* local read b */

_ds_load_b64 v[vgprValuB_X1_I0+0:vgprValuB_X1_I0+0+1], v[vgprLocalReadAddrB] offset:0 // L -> Reg lro=0 swapByteOffset=0 ti=64 vIdx=0 rIdx=0 oIdx=0 buffer=1 iui=0
_ds_load_b64 v[vgprValuB_X1_I0+2:vgprValuB_X1_I0+2+1], v[vgprLocalReadAddrB] offset:9216 // L -> Reg lro=0 swapByteOffset=0 ti=64 vIdx=1 rIdx=0 oIdx=0 buffer=1 iui=0
	;; [unrolled: 1-line block ×3, first 2 shown]


/* local read inc a */

s_mov_b32 s55, 0x20                                // inc
_v_add_co_u32 v[vgprLocalReadAddrA], vcc, s55, v[vgprLocalReadAddrA] // lrA += 32 (LSU*bpe)


/* local read inc b */

s_mov_b32 s55, 0x20                                // inc
_v_add_co_u32 v[vgprLocalReadAddrB], vcc, s55, v[vgprLocalReadAddrB] // lrB += 32 (LSU*bpe)

s_waitcnt lgkmcnt(0)                               // lgkmcnt=0 vmcnt=-14wait for local read


	;; [unrolled: 1-line block ×3, first 2 shown]
/* tail loop mfma iter 1: numReadsIterCoalescedA=1, numReadsIterCoalescedB=1 */
v_and_b32 v97, 63, v[vgprSerial]                   // v97 = v[vgprSerial] % 64
v_lshrrev_b32 v97, 4, v97                          // v97 = v97 / 16
v_lshlrev_b32 v97, 0x2, v97                        // v97 = v97 * 4
v_cmp_ge_i32 s[76:77], v97, s[sgprLoopCounterL]    // check K index >= Size L
v_cndmask_b32 v[vgprValuA_X1_I0+0+0+0+0], v[vgprValuA_X1_I0+0+0+0+0], 0x0, s[76:77] // set 0 if K_idx >= sizeL
v_cndmask_b32 v[vgprValuA_X1_I0+2+0+0+0], v[vgprValuA_X1_I0+2+0+0+0], 0x0, s[76:77] // set 0 if K_idx >= sizeL
	;; [unrolled: 1-line block ×9, first 2 shown]
v_cndmask_b32 v[vgprValuB_X1_I0+0+0+0+0], v[vgprValuB_X1_I0+0+0+0+0], 0x0, s[76:77] // set 0 if K_idx >= sizeL
v_cndmask_b32 v[vgprValuB_X1_I0+2+0+0+0], v[vgprValuB_X1_I0+2+0+0+0], 0x0, s[76:77] // set 0 if K_idx >= sizeL
	;; [unrolled: 1-line block ×3, first 2 shown]
v_cndmask_b32 v[vgprValuA_X1_I0+0+0+0+1], v[vgprValuA_X1_I0+0+0+0+1], 0x0, s[76:77] // set 0 if K_idx >= sizeL
v_cndmask_b32 v[vgprValuA_X1_I0+2+0+0+1], v[vgprValuA_X1_I0+2+0+0+1], 0x0, s[76:77] // set 0 if K_idx >= sizeL
	;; [unrolled: 1-line block ×9, first 2 shown]
v_cndmask_b32 v[vgprValuB_X1_I0+0+0+0+1], v[vgprValuB_X1_I0+0+0+0+1], 0x0, s[76:77] // set 0 if K_idx >= sizeL
v_cndmask_b32 v[vgprValuB_X1_I0+2+0+0+1], v[vgprValuB_X1_I0+2+0+0+1], 0x0, s[76:77] // set 0 if K_idx >= sizeL
	;; [unrolled: 1-line block ×3, first 2 shown]
_v_sub_u32 v97, s[sgprLoopCounterL], v97           // get distance between size and k index
v_cmp_lt_i32 s[76:77], v97, 4                      // set partial 0 if distance less than input per thread
s_and_b32 s78, s[sgprLoopCounterL], 3              // get inputs for edge thread
s_sub_u32 s78, 4, s78                              // use shift to fill 0 for outside element
s_lshl_b32 s78, s78, 4                             // use shift to fill 0 for outside element
v_mov_b32 v98, -1                                  // set 0xffffffff
v_mov_b32 v99, -1                                  // set 0xffffffff
v_lshrrev_b64 v[98:99], s78, v[98:99]              // rshift mask for partial k
v_cndmask_b32 v98, -1, v98, s[76:77]               // select shifted mask for partial k
v_cndmask_b32 v99, -1, v99, s[76:77]               // select shifted mask for partial k
v_and_b32 v[vgprValuA_X1_I0+0+0+0+0], v[vgprValuA_X1_I0+0+0+0+0], v98 // 
v_and_b32 v[vgprValuA_X1_I0+0+0+0+1], v[vgprValuA_X1_I0+0+0+0+1], v99 // 
	;; [unrolled: 1-line block ×18, first 2 shown]
v_and_b32 v[vgprValuB_X1_I0+0+0+0+0], v[vgprValuB_X1_I0+0+0+0+0], v98 // 
v_and_b32 v[vgprValuB_X1_I0+0+0+0+1], v[vgprValuB_X1_I0+0+0+0+1], v99 // 
	;; [unrolled: 1-line block ×6, first 2 shown]
s_nop 1
v_mfma_f32_16x16x16_f16 a[0+0:3+0], v[vgprValuB_X1_I0+0+0+0:vgprValuB_X1_I0+0+0+0+1], v[vgprValuA_X1_I0+0+0+0:vgprValuA_X1_I0+0+0+0+1], a[0:3]
v_mfma_f32_16x16x16_f16 a[4+0:7+0], v[vgprValuB_X1_I0+0+0+0:vgprValuB_X1_I0+0+0+0+1], v[vgprValuA_X1_I0+2+0+0:vgprValuA_X1_I0+2+0+0+1], a[4:7]
	;; [unrolled: 1-line block ×27, first 2 shown]


/* closeLoop loopL finalLoop=0 tailLoop=1 */
s_sub_i32 s[sgprLoopCounterL], s[sgprLoopCounterL], 0x10 // dec counterL (tailLoop)
s_add_u32 s[sgprOrigLoopCounter], s[sgprOrigLoopCounter], 0x10 // inc counterL
s_cmp_le_i32 s[sgprLoopCounterL], 0x0              // counterL<=0
s_cbranch_scc1 TailLoopEndL_7                      // exit LoopL


/* tail loop unroll iter 2 */


/* local read a */

_ds_load_b64 v[vgprValuA_X0_I0+0:vgprValuA_X0_I0+0+1], v[vgprLocalReadAddrA] offset:0 // L -> Reg lro=0 swapByteOffset=0 ti=16 vIdx=0 rIdx=0 oIdx=0 buffer=0 iui=0
_ds_load_b64 v[vgprValuA_X0_I0+2:vgprValuA_X0_I0+2+1], v[vgprLocalReadAddrA] offset:2176 // L -> Reg lro=0 swapByteOffset=0 ti=16 vIdx=1 rIdx=0 oIdx=0 buffer=0 iui=0
	;; [unrolled: 1-line block ×9, first 2 shown]


/* local read b */

_ds_load_b64 v[vgprValuB_X0_I0+0:vgprValuB_X0_I0+0+1], v[vgprLocalReadAddrB] offset:0 // L -> Reg lro=0 swapByteOffset=0 ti=64 vIdx=0 rIdx=0 oIdx=0 buffer=0 iui=0
_ds_load_b64 v[vgprValuB_X0_I0+2:vgprValuB_X0_I0+2+1], v[vgprLocalReadAddrB] offset:9216 // L -> Reg lro=0 swapByteOffset=0 ti=64 vIdx=1 rIdx=0 oIdx=0 buffer=0 iui=0
_ds_load_b64 v[vgprValuB_X0_I0+4:vgprValuB_X0_I0+4+1], v[vgprLocalReadAddrB] offset:18432 // L -> Reg lro=0 swapByteOffset=0 ti=64 vIdx=2 rIdx=0 oIdx=0 buffer=0 iui=0


/* local read inc a */

s_mov_b32 s55, 0x20                                // inc
_v_add_co_u32 v[vgprLocalReadAddrA], vcc, s55, v[vgprLocalReadAddrA] // lrA += 32 (LSU*bpe)


/* local read inc b */

s_mov_b32 s55, 0x20                                // inc
_v_add_co_u32 v[vgprLocalReadAddrB], vcc, s55, v[vgprLocalReadAddrB] // lrB += 32 (LSU*bpe)

s_waitcnt lgkmcnt(0)                               // lgkmcnt=0 vmcnt=-14wait for local read


	;; [unrolled: 1-line block ×3, first 2 shown]
/* tail loop mfma iter 2: numReadsIterCoalescedA=1, numReadsIterCoalescedB=1 */
v_and_b32 v97, 63, v[vgprSerial]                   // v97 = v[vgprSerial] % 64
v_lshrrev_b32 v97, 4, v97                          // v97 = v97 / 16
v_lshlrev_b32 v97, 0x2, v97                        // v97 = v97 * 4
v_cmp_ge_i32 s[76:77], v97, s[sgprLoopCounterL]    // check K index >= Size L
v_cndmask_b32 v[vgprValuA_X0_I0+0+0+0+0], v[vgprValuA_X0_I0+0+0+0+0], 0x0, s[76:77] // set 0 if K_idx >= sizeL
v_cndmask_b32 v[vgprValuA_X0_I0+2+0+0+0], v[vgprValuA_X0_I0+2+0+0+0], 0x0, s[76:77] // set 0 if K_idx >= sizeL
	;; [unrolled: 1-line block ×9, first 2 shown]
v_cndmask_b32 v[vgprValuB_X0_I0+0+0+0+0], v[vgprValuB_X0_I0+0+0+0+0], 0x0, s[76:77] // set 0 if K_idx >= sizeL
v_cndmask_b32 v[vgprValuB_X0_I0+2+0+0+0], v[vgprValuB_X0_I0+2+0+0+0], 0x0, s[76:77] // set 0 if K_idx >= sizeL
	;; [unrolled: 1-line block ×3, first 2 shown]
v_cndmask_b32 v[vgprValuA_X0_I0+0+0+0+1], v[vgprValuA_X0_I0+0+0+0+1], 0x0, s[76:77] // set 0 if K_idx >= sizeL
v_cndmask_b32 v[vgprValuA_X0_I0+2+0+0+1], v[vgprValuA_X0_I0+2+0+0+1], 0x0, s[76:77] // set 0 if K_idx >= sizeL
	;; [unrolled: 1-line block ×9, first 2 shown]
v_cndmask_b32 v[vgprValuB_X0_I0+0+0+0+1], v[vgprValuB_X0_I0+0+0+0+1], 0x0, s[76:77] // set 0 if K_idx >= sizeL
v_cndmask_b32 v[vgprValuB_X0_I0+2+0+0+1], v[vgprValuB_X0_I0+2+0+0+1], 0x0, s[76:77] // set 0 if K_idx >= sizeL
	;; [unrolled: 1-line block ×3, first 2 shown]
_v_sub_u32 v97, s[sgprLoopCounterL], v97           // get distance between size and k index
v_cmp_lt_i32 s[76:77], v97, 4                      // set partial 0 if distance less than input per thread
s_and_b32 s78, s[sgprLoopCounterL], 3              // get inputs for edge thread
s_sub_u32 s78, 4, s78                              // use shift to fill 0 for outside element
s_lshl_b32 s78, s78, 4                             // use shift to fill 0 for outside element
v_mov_b32 v98, -1                                  // set 0xffffffff
v_mov_b32 v99, -1                                  // set 0xffffffff
v_lshrrev_b64 v[98:99], s78, v[98:99]              // rshift mask for partial k
v_cndmask_b32 v98, -1, v98, s[76:77]               // select shifted mask for partial k
v_cndmask_b32 v99, -1, v99, s[76:77]               // select shifted mask for partial k
v_and_b32 v[vgprValuA_X0_I0+0+0+0+0], v[vgprValuA_X0_I0+0+0+0+0], v98 // 
v_and_b32 v[vgprValuA_X0_I0+0+0+0+1], v[vgprValuA_X0_I0+0+0+0+1], v99 // 
	;; [unrolled: 1-line block ×18, first 2 shown]
v_and_b32 v[vgprValuB_X0_I0+0+0+0+0], v[vgprValuB_X0_I0+0+0+0+0], v98 // 
v_and_b32 v[vgprValuB_X0_I0+0+0+0+1], v[vgprValuB_X0_I0+0+0+0+1], v99 // 
	;; [unrolled: 1-line block ×6, first 2 shown]
s_nop 1
v_mfma_f32_16x16x16_f16 a[0+0:3+0], v[vgprValuB_X0_I0+0+0+0:vgprValuB_X0_I0+0+0+0+1], v[vgprValuA_X0_I0+0+0+0:vgprValuA_X0_I0+0+0+0+1], a[0:3]
v_mfma_f32_16x16x16_f16 a[4+0:7+0], v[vgprValuB_X0_I0+0+0+0:vgprValuB_X0_I0+0+0+0+1], v[vgprValuA_X0_I0+2+0+0:vgprValuA_X0_I0+2+0+0+1], a[4:7]
	;; [unrolled: 1-line block ×27, first 2 shown]


/* closeLoop loopL finalLoop=0 tailLoop=1 */
s_sub_i32 s[sgprLoopCounterL], s[sgprLoopCounterL], 0x10 // dec counterL (tailLoop)
s_add_u32 s[sgprOrigLoopCounter], s[sgprOrigLoopCounter], 0x10 // inc counterL
s_cmp_le_i32 s[sgprLoopCounterL], 0x0              // counterL<=0
s_cbranch_scc1 TailLoopEndL_7                      // exit LoopL


/* tail loop unroll iter 3 */


/* local read a */

_ds_load_b64 v[vgprValuA_X1_I0+0:vgprValuA_X1_I0+0+1], v[vgprLocalReadAddrA] offset:0 // L -> Reg lro=0 swapByteOffset=0 ti=16 vIdx=0 rIdx=0 oIdx=0 buffer=1 iui=0
_ds_load_b64 v[vgprValuA_X1_I0+2:vgprValuA_X1_I0+2+1], v[vgprLocalReadAddrA] offset:2176 // L -> Reg lro=0 swapByteOffset=0 ti=16 vIdx=1 rIdx=0 oIdx=0 buffer=1 iui=0
	;; [unrolled: 1-line block ×9, first 2 shown]


/* local read b */

_ds_load_b64 v[vgprValuB_X1_I0+0:vgprValuB_X1_I0+0+1], v[vgprLocalReadAddrB] offset:0 // L -> Reg lro=0 swapByteOffset=0 ti=64 vIdx=0 rIdx=0 oIdx=0 buffer=1 iui=0
_ds_load_b64 v[vgprValuB_X1_I0+2:vgprValuB_X1_I0+2+1], v[vgprLocalReadAddrB] offset:9216 // L -> Reg lro=0 swapByteOffset=0 ti=64 vIdx=1 rIdx=0 oIdx=0 buffer=1 iui=0
_ds_load_b64 v[vgprValuB_X1_I0+4:vgprValuB_X1_I0+4+1], v[vgprLocalReadAddrB] offset:18432 // L -> Reg lro=0 swapByteOffset=0 ti=64 vIdx=2 rIdx=0 oIdx=0 buffer=1 iui=0


/* local read inc a */

s_mov_b32 s55, 0x28                                // inc
_v_add_co_u32 v[vgprLocalReadAddrA], vcc, s55, v[vgprLocalReadAddrA] // lrA += 40 (LSU*bpe)


/* local read inc b */

s_mov_b32 s55, 0x30                                // inc
_v_add_co_u32 v[vgprLocalReadAddrB], vcc, s55, v[vgprLocalReadAddrB] // lrB += 48 (LSU*bpe)

s_waitcnt lgkmcnt(0)                               // lgkmcnt=0 vmcnt=-14wait for local read


	;; [unrolled: 1-line block ×3, first 2 shown]
/* tail loop mfma iter 3: numReadsIterCoalescedA=1, numReadsIterCoalescedB=1 */
v_and_b32 v97, 63, v[vgprSerial]                   // v97 = v[vgprSerial] % 64
v_lshrrev_b32 v97, 4, v97                          // v97 = v97 / 16
v_lshlrev_b32 v97, 0x2, v97                        // v97 = v97 * 4
v_cmp_ge_i32 s[76:77], v97, s[sgprLoopCounterL]    // check K index >= Size L
v_cndmask_b32 v[vgprValuA_X1_I0+0+0+0+0], v[vgprValuA_X1_I0+0+0+0+0], 0x0, s[76:77] // set 0 if K_idx >= sizeL
v_cndmask_b32 v[vgprValuA_X1_I0+2+0+0+0], v[vgprValuA_X1_I0+2+0+0+0], 0x0, s[76:77] // set 0 if K_idx >= sizeL
	;; [unrolled: 1-line block ×9, first 2 shown]
v_cndmask_b32 v[vgprValuB_X1_I0+0+0+0+0], v[vgprValuB_X1_I0+0+0+0+0], 0x0, s[76:77] // set 0 if K_idx >= sizeL
v_cndmask_b32 v[vgprValuB_X1_I0+2+0+0+0], v[vgprValuB_X1_I0+2+0+0+0], 0x0, s[76:77] // set 0 if K_idx >= sizeL
	;; [unrolled: 1-line block ×3, first 2 shown]
v_cndmask_b32 v[vgprValuA_X1_I0+0+0+0+1], v[vgprValuA_X1_I0+0+0+0+1], 0x0, s[76:77] // set 0 if K_idx >= sizeL
v_cndmask_b32 v[vgprValuA_X1_I0+2+0+0+1], v[vgprValuA_X1_I0+2+0+0+1], 0x0, s[76:77] // set 0 if K_idx >= sizeL
	;; [unrolled: 1-line block ×9, first 2 shown]
v_cndmask_b32 v[vgprValuB_X1_I0+0+0+0+1], v[vgprValuB_X1_I0+0+0+0+1], 0x0, s[76:77] // set 0 if K_idx >= sizeL
v_cndmask_b32 v[vgprValuB_X1_I0+2+0+0+1], v[vgprValuB_X1_I0+2+0+0+1], 0x0, s[76:77] // set 0 if K_idx >= sizeL
	;; [unrolled: 1-line block ×3, first 2 shown]
_v_sub_u32 v97, s[sgprLoopCounterL], v97           // get distance between size and k index
v_cmp_lt_i32 s[76:77], v97, 4                      // set partial 0 if distance less than input per thread
s_and_b32 s78, s[sgprLoopCounterL], 3              // get inputs for edge thread
s_sub_u32 s78, 4, s78                              // use shift to fill 0 for outside element
s_lshl_b32 s78, s78, 4                             // use shift to fill 0 for outside element
v_mov_b32 v98, -1                                  // set 0xffffffff
v_mov_b32 v99, -1                                  // set 0xffffffff
v_lshrrev_b64 v[98:99], s78, v[98:99]              // rshift mask for partial k
v_cndmask_b32 v98, -1, v98, s[76:77]               // select shifted mask for partial k
v_cndmask_b32 v99, -1, v99, s[76:77]               // select shifted mask for partial k
v_and_b32 v[vgprValuA_X1_I0+0+0+0+0], v[vgprValuA_X1_I0+0+0+0+0], v98 // 
v_and_b32 v[vgprValuA_X1_I0+0+0+0+1], v[vgprValuA_X1_I0+0+0+0+1], v99 // 
	;; [unrolled: 1-line block ×18, first 2 shown]
v_and_b32 v[vgprValuB_X1_I0+0+0+0+0], v[vgprValuB_X1_I0+0+0+0+0], v98 // 
v_and_b32 v[vgprValuB_X1_I0+0+0+0+1], v[vgprValuB_X1_I0+0+0+0+1], v99 // 
	;; [unrolled: 1-line block ×6, first 2 shown]
s_nop 1
v_mfma_f32_16x16x16_f16 a[0+0:3+0], v[vgprValuB_X1_I0+0+0+0:vgprValuB_X1_I0+0+0+0+1], v[vgprValuA_X1_I0+0+0+0:vgprValuA_X1_I0+0+0+0+1], a[0:3]
v_mfma_f32_16x16x16_f16 a[4+0:7+0], v[vgprValuB_X1_I0+0+0+0:vgprValuB_X1_I0+0+0+0+1], v[vgprValuA_X1_I0+2+0+0:vgprValuA_X1_I0+2+0+0+1], a[4:7]
	;; [unrolled: 1-line block ×27, first 2 shown]


/* closeLoop loopL finalLoop=1 tailLoop=1 */
s_sub_i32 s[sgprLoopCounterL], s[sgprLoopCounterL], 0x10 // dec counterL (tailLoop)
s_add_u32 s[sgprOrigLoopCounter], s[sgprOrigLoopCounter], 0x10 // inc counterL
s_cmp_le_i32 s[sgprLoopCounterL], 0x0              // counterL<=0
s_cbranch_scc0 TailLoopBeginL_6                    // restart LoopL
TailLoopEndL_7:

SkipTailLoopL_8:

Summation_End_30:
s_setprio 0                                        // optimization store
/* endSummation: add vgpr [0...94) to pool */
.set NumFullBlocks, UNDEF
.set WgmRemainder1, UNDEF
.set MagicNumberWgmRemainder1, UNDEF
.set ScalarGlobalReadOffsetA, UNDEF

/* Mapping of Acc register -> C Vgpr register */


	;; [unrolled: 1-line block ×3, first 2 shown]
/* not-LocalSplitU: global write indices */

/* computeStoreVgprs */
v_lshrrev_b32 v4, 6, v[vgprSerial]                 // v4 = v[vgprSerial] / 64
v_and_b32 v1, 63, v[vgprSerial]                    // v1 = v[vgprSerial] % 64
v_lshrrev_b32 v1, 4, v1                            // v1 = v1 / 16
v_lshlrev_b32 v1, 0x2, v1                          // thread0 * continuous_output
v_lshrrev_b32 v5, 0, v4                            // v5 = v4 / 1
v_mul_lo_u32 v5, 0x10, v5                          // wave coordination offset 1
_v_add_lshl_u32 v1, v5, v1, 0                      // coordination 1 = vwb *(wave_id1 + tid1)
v_mul_lo_u32 v2, v1, s[sgprStrideC1J]              //  offset 1
v_mul_lo_u32 v3, v1, s[sgprStrideD1J]              //  offset 1
v_and_b32 v5, 0, v4                                // v5 = v4 % 1
v_and_b32 v0, 15, v[vgprSerial]                    // v0 = v[vgprSerial] % 16
_v_add_lshl_u32 v0, v5, v0, 0                      // coordination 0 = vwa *(wave_id0 + tid0)
s_mul_i32 s52, 144, s[sgprWorkGroup0]              // wgp0 * MT0
_v_add_u32 v0, s52, v0                             // coord 0 = (tid0/MI_m)*4 + waveG0*MIB_m + MT0*SG0
s_mul_i32 s52, 192, s[sgprWorkGroup1]              // wgp1 * MT1
_v_add_u32 v1, s52, v1                             // coord 1 = (tid0%MI_m) + waveG1*MIB_n + MT1*SG1


/* not-LocalSplitU: global write */

s_cmpk_eq_u32 s[sgprBeta], 0x0                     // Beta == 0
s_cbranch_scc0 GW_Beta_45                          // Branch if Beta is not zero

s_mov_b32 s55, 0x0                                 // STATIC_DIV: divisior=144
s_mul_i32 s54, 0x38e, s[sgprSizeI]                 // tmp1 = dividend * magic hi
s_lshl_b64 s[54:55], s[54:55], 0x10                // left shift 16 bits
s_mul_i32 s53, s[sgprSizeI], 0x38e4                // tmp0 = dividend * magic lo
s_add_u32 s54, s53, s54                            // add lo
s_addc_u32 s55, s55, 0x0                           // add hi
s_lshr_b64 s[54:55], s[54:55], 0x21                // tmp1 = (dividend * magic) << shift
s_mov_b32 s53, s54                                 // quotient
s_mul_i32 s54, s53, 0x90                           // quotient*divisor
s_sub_u32 s52, s[sgprSizeI], s54                   // rReg = dividend - quotient*divisor
s_add_u32 s53, -0x1, s[sgprNumWorkGroups0]         // 
s_cmp_ge_u32 s[sgprWorkGroup0], s53                // wg0 >= nwg0-1 ?
s_cselect_b32 s52, s52, 0                          // set rMT0
s_cmpk_gt_u32 s52, 0x0                             // rMT0 > 0
s_cbranch_scc1 GW_B0_E1_36                         // jump if edges required
s_mov_b32 s55, 0x0                                 // STATIC_DIV: divisior=192
s_mul_i32 s54, 0x2aa, s[sgprSizeJ]                 // tmp1 = dividend * magic hi
s_lshl_b64 s[54:55], s[54:55], 0x10                // left shift 16 bits
s_mul_i32 s53, s[sgprSizeJ], 0xaaab                // tmp0 = dividend * magic lo
s_add_u32 s54, s53, s54                            // add lo
s_addc_u32 s55, s55, 0x0                           // add hi
s_lshr_b64 s[54:55], s[54:55], 0x21                // tmp1 = (dividend * magic) << shift
s_mov_b32 s53, s54                                 // quotient
s_mul_i32 s54, s53, 0xc0                           // quotient*divisor
s_sub_u32 s52, s[sgprSizeJ], s54                   // rReg = dividend - quotient*divisor
s_add_u32 s53, -0x1, s[sgprNumWorkGroups1]         // 
s_cmp_ge_u32 s[sgprWorkGroup1], s53                // wg1 >= nwg1-1
s_cselect_b32 s52, s52, 0                          // set rMT1
s_cmpk_gt_u32 s52, 0x0                             // rMT1 > 0
s_cbranch_scc1 GW_B0_E1_36                         // jump if edges required
GW_B0_E0_33:

/* edge=0, allocate 2 sgpr. perBatchTmpS=2 perBatchMaskS=0 perElementMaskS=0 elementsPerBatch=244 */
/* optSingleColVgpr=1 optSharedColVgpr=0 optSGPRUsage=BufferLoad_Mask optSrdIncForRow=1 */

/******************************************/
/* Global Write Alpha Batch #0 (d1,d0,vc1,vc0) = */
/*    (0,0,0,0:vw1); (0,1,0,0:vw1); (0,2,0,0:vw1); (0,3,0,0:vw1); (0,4,0,0:vw1); (0,5,0,0:vw1); (0,6,0,0:vw1); (0,7,0,0:vw1); (0,8,0,0:vw1); (0,0,1,0:vw1); (0,1,1,0:vw1); (0,2,1,0:vw1); (0,3,1,0:vw1); (0,4,1,0:vw1); (0,5,1,0:vw1); (0,6,1,0:vw1); (0,7,1,0:vw1); (0,8,1,0:vw1); (0,0,2,0:vw1); (0,1,2,0:vw1); (0,2,2,0:vw1); (0,3,2,0:vw1); (0,4,2,0:vw1); (0,5,2,0:vw1); (0,6,2,0:vw1); (0,7,2,0:vw1); (0,8,2,0:vw1); (0,0,3,0:vw1); (0,1,3,0:vw1); (0,2,3,0:vw1); (0,3,3,0:vw1); (0,4,3,0:vw1); (0,5,3,0:vw1); (0,6,3,0:vw1); (0,7,3,0:vw1); (0,8,3,0:vw1); (1,0,0,0:vw1); (1,1,0,0:vw1); (1,2,0,0:vw1); (1,3,0,0:vw1); (1,4,0,0:vw1); (1,5,0,0:vw1); (1,6,0,0:vw1); (1,7,0,0:vw1); (1,8,0,0:vw1); (1,0,1,0:vw1); (1,1,1,0:vw1); (1,2,1,0:vw1); (1,3,1,0:vw1); (1,4,1,0:vw1); (1,5,1,0:vw1); (1,6,1,0:vw1); (1,7,1,0:vw1); (1,8,1,0:vw1); (1,0,2,0:vw1); (1,1,2,0:vw1); (1,2,2,0:vw1); (1,3,2,0:vw1); (1,4,2,0:vw1); (1,5,2,0:vw1); (1,6,2,0:vw1); (1,7,2,0:vw1); (1,8,2,0:vw1); (1,0,3,0:vw1); (1,1,3,0:vw1); (1,2,3,0:vw1); (1,3,3,0:vw1); (1,4,3,0:vw1); (1,5,3,0:vw1); (1,6,3,0:vw1); (1,7,3,0:vw1); (1,8,3,0:vw1); (2,0,0,0:vw1); (2,1,0,0:vw1); (2,2,0,0:vw1); (2,3,0,0:vw1); (2,4,0,0:vw1); (2,5,0,0:vw1); (2,6,0,0:vw1); (2,7,0,0:vw1); (2,8,0,0:vw1); (2,0,1,0:vw1); (2,1,1,0:vw1); (2,2,1,0:vw1); (2,3,1,0:vw1); (2,4,1,0:vw1); (2,5,1,0:vw1); (2,6,1,0:vw1); (2,7,1,0:vw1); (2,8,1,0:vw1); (2,0,2,0:vw1); (2,1,2,0:vw1); (2,2,2,0:vw1); (2,3,2,0:vw1); (2,4,2,0:vw1); (2,5,2,0:vw1); (2,6,2,0:vw1); (2,7,2,0:vw1); (2,8,2,0:vw1); (2,0,3,0:vw1); (2,1,3,0:vw1); (2,2,3,0:vw1); (2,3,3,0:vw1); (2,4,3,0:vw1); (2,5,3,0:vw1); (2,6,3,0:vw1); (2,7,3,0:vw1); (2,8,3,0:vw1) */
/******************************************/

/* calc coords, apply mask, and issue loads (if necessary) */
/* (d1,vc1,d0,vc0)=(0,0,0,0) */
/* (d1,vc1,d0,vc0)=(0,0,1,0) */
	;; [unrolled: 1-line block ×108, first 2 shown]
_v_add_lshl_u32 v6, v3, v0, 0x1                    // optSingleColVgpr scaleToBpe: sharedAddrVgpr <- cinRowPtr + coord0, scaled by BPE. BSHERE:coord0=0, coord0Vgpr=0
v_accvgpr_read_b32 v[vgprValuC+8], acc0 // copy acc to vreg[0]
v_accvgpr_read_b32 v[vgprValuC+9], acc4 // copy acc to vreg[1]
v_accvgpr_read_b32 v[vgprValuC+10], acc8 // copy acc to vreg[2]
v_accvgpr_read_b32 v[vgprValuC+11], acc12 // copy acc to vreg[3]
v_accvgpr_read_b32 v[vgprValuC+12], acc16 // copy acc to vreg[4]
v_accvgpr_read_b32 v[vgprValuC+13], acc20 // copy acc to vreg[5]
v_accvgpr_read_b32 v[vgprValuC+14], acc24 // copy acc to vreg[6]
v_accvgpr_read_b32 v[vgprValuC+15], acc28 // copy acc to vreg[7]
v_accvgpr_read_b32 v[vgprValuC+16], acc32 // copy acc to vreg[8]
v_accvgpr_read_b32 v[vgprValuC+17], acc1 // copy acc to vreg[9]
v_accvgpr_read_b32 v[vgprValuC+18], acc5 // copy acc to vreg[10]
v_accvgpr_read_b32 v[vgprValuC+19], acc9 // copy acc to vreg[11]
v_accvgpr_read_b32 v[vgprValuC+20], acc13 // copy acc to vreg[12]
v_accvgpr_read_b32 v[vgprValuC+21], acc17 // copy acc to vreg[13]
v_accvgpr_read_b32 v[vgprValuC+22], acc21 // copy acc to vreg[14]
v_accvgpr_read_b32 v[vgprValuC+23], acc25 // copy acc to vreg[15]
v_accvgpr_read_b32 v[vgprValuC+24], acc29 // copy acc to vreg[16]
v_accvgpr_read_b32 v[vgprValuC+25], acc33 // copy acc to vreg[17]
v_accvgpr_read_b32 v[vgprValuC+26], acc2 // copy acc to vreg[18]
v_accvgpr_read_b32 v[vgprValuC+27], acc6 // copy acc to vreg[19]
v_accvgpr_read_b32 v[vgprValuC+28], acc10 // copy acc to vreg[20]
v_accvgpr_read_b32 v[vgprValuC+29], acc14 // copy acc to vreg[21]
v_accvgpr_read_b32 v[vgprValuC+30], acc18 // copy acc to vreg[22]
v_accvgpr_read_b32 v[vgprValuC+31], acc22 // copy acc to vreg[23]
v_accvgpr_read_b32 v[vgprValuC+32], acc26 // copy acc to vreg[24]
v_accvgpr_read_b32 v[vgprValuC+33], acc30 // copy acc to vreg[25]
v_accvgpr_read_b32 v[vgprValuC+34], acc34 // copy acc to vreg[26]
v_accvgpr_read_b32 v[vgprValuC+35], acc3 // copy acc to vreg[27]
v_accvgpr_read_b32 v[vgprValuC+36], acc7 // copy acc to vreg[28]
v_accvgpr_read_b32 v[vgprValuC+37], acc11 // copy acc to vreg[29]
v_accvgpr_read_b32 v[vgprValuC+38], acc15 // copy acc to vreg[30]
v_accvgpr_read_b32 v[vgprValuC+39], acc19 // copy acc to vreg[31]
v_accvgpr_read_b32 v[vgprValuC+40], acc23 // copy acc to vreg[32]
v_accvgpr_read_b32 v[vgprValuC+41], acc27 // copy acc to vreg[33]
v_accvgpr_read_b32 v[vgprValuC+42], acc31 // copy acc to vreg[34]
v_accvgpr_read_b32 v[vgprValuC+43], acc35 // copy acc to vreg[35]
v_accvgpr_read_b32 v[vgprValuC+44], acc36 // copy acc to vreg[36]
v_accvgpr_read_b32 v[vgprValuC+45], acc40 // copy acc to vreg[37]
v_accvgpr_read_b32 v[vgprValuC+46], acc44 // copy acc to vreg[38]
v_accvgpr_read_b32 v[vgprValuC+47], acc48 // copy acc to vreg[39]
v_accvgpr_read_b32 v[vgprValuC+48], acc52 // copy acc to vreg[40]
v_accvgpr_read_b32 v[vgprValuC+49], acc56 // copy acc to vreg[41]
v_accvgpr_read_b32 v[vgprValuC+50], acc60 // copy acc to vreg[42]
v_accvgpr_read_b32 v[vgprValuC+51], acc64 // copy acc to vreg[43]
v_accvgpr_read_b32 v[vgprValuC+52], acc68 // copy acc to vreg[44]
v_accvgpr_read_b32 v[vgprValuC+53], acc37 // copy acc to vreg[45]
v_accvgpr_read_b32 v[vgprValuC+54], acc41 // copy acc to vreg[46]
v_accvgpr_read_b32 v[vgprValuC+55], acc45 // copy acc to vreg[47]
v_accvgpr_read_b32 v[vgprValuC+56], acc49 // copy acc to vreg[48]
v_accvgpr_read_b32 v[vgprValuC+57], acc53 // copy acc to vreg[49]
v_accvgpr_read_b32 v[vgprValuC+58], acc57 // copy acc to vreg[50]
v_accvgpr_read_b32 v[vgprValuC+59], acc61 // copy acc to vreg[51]
v_accvgpr_read_b32 v[vgprValuC+60], acc65 // copy acc to vreg[52]
v_accvgpr_read_b32 v[vgprValuC+61], acc69 // copy acc to vreg[53]
v_accvgpr_read_b32 v[vgprValuC+62], acc38 // copy acc to vreg[54]
v_accvgpr_read_b32 v[vgprValuC+63], acc42 // copy acc to vreg[55]
v_accvgpr_read_b32 v[vgprValuC+64], acc46 // copy acc to vreg[56]
v_accvgpr_read_b32 v[vgprValuC+65], acc50 // copy acc to vreg[57]
v_accvgpr_read_b32 v[vgprValuC+66], acc54 // copy acc to vreg[58]
v_accvgpr_read_b32 v[vgprValuC+67], acc58 // copy acc to vreg[59]
v_accvgpr_read_b32 v[vgprValuC+68], acc62 // copy acc to vreg[60]
v_accvgpr_read_b32 v[vgprValuC+69], acc66 // copy acc to vreg[61]
v_accvgpr_read_b32 v[vgprValuC+70], acc70 // copy acc to vreg[62]
v_accvgpr_read_b32 v[vgprValuC+71], acc39 // copy acc to vreg[63]
v_accvgpr_read_b32 v[vgprValuC+72], acc43 // copy acc to vreg[64]
v_accvgpr_read_b32 v[vgprValuC+73], acc47 // copy acc to vreg[65]
v_accvgpr_read_b32 v[vgprValuC+74], acc51 // copy acc to vreg[66]
v_accvgpr_read_b32 v[vgprValuC+75], acc55 // copy acc to vreg[67]
v_accvgpr_read_b32 v[vgprValuC+76], acc59 // copy acc to vreg[68]
v_accvgpr_read_b32 v[vgprValuC+77], acc63 // copy acc to vreg[69]
v_accvgpr_read_b32 v[vgprValuC+78], acc67 // copy acc to vreg[70]
v_accvgpr_read_b32 v[vgprValuC+79], acc71 // copy acc to vreg[71]
v_accvgpr_read_b32 v[vgprValuC+80], acc72 // copy acc to vreg[72]
v_accvgpr_read_b32 v[vgprValuC+81], acc76 // copy acc to vreg[73]
v_accvgpr_read_b32 v[vgprValuC+82], acc80 // copy acc to vreg[74]
v_accvgpr_read_b32 v[vgprValuC+83], acc84 // copy acc to vreg[75]
v_accvgpr_read_b32 v[vgprValuC+84], acc88 // copy acc to vreg[76]
v_accvgpr_read_b32 v[vgprValuC+85], acc92 // copy acc to vreg[77]
v_accvgpr_read_b32 v[vgprValuC+86], acc96 // copy acc to vreg[78]
v_accvgpr_read_b32 v[vgprValuC+87], acc100 // copy acc to vreg[79]
v_accvgpr_read_b32 v[vgprValuC+88], acc104 // copy acc to vreg[80]
v_accvgpr_read_b32 v[vgprValuC+89], acc73 // copy acc to vreg[81]
v_accvgpr_read_b32 v[vgprValuC+90], acc77 // copy acc to vreg[82]
v_accvgpr_read_b32 v[vgprValuC+91], acc81 // copy acc to vreg[83]
v_accvgpr_read_b32 v[vgprValuC+92], acc85 // copy acc to vreg[84]
v_accvgpr_read_b32 v[vgprValuC+93], acc89 // copy acc to vreg[85]
v_accvgpr_read_b32 v[vgprValuC+97], acc93 // copy acc to vreg[86]
v_accvgpr_read_b32 v[vgprValuC+98], acc97 // copy acc to vreg[87]
v_accvgpr_read_b32 v[vgprValuC+99], acc101 // copy acc to vreg[88]
v_accvgpr_read_b32 v[vgprValuC+100], acc105 // copy acc to vreg[89]
v_accvgpr_read_b32 v[vgprValuC+101], acc74 // copy acc to vreg[90]
v_accvgpr_read_b32 v[vgprValuC+102], acc78 // copy acc to vreg[91]
v_accvgpr_read_b32 v[vgprValuC+103], acc82 // copy acc to vreg[92]
v_accvgpr_read_b32 v[vgprValuC+104], acc86 // copy acc to vreg[93]
v_accvgpr_read_b32 v[vgprValuC+105], acc90 // copy acc to vreg[94]
v_accvgpr_read_b32 v[vgprValuC+106], acc94 // copy acc to vreg[95]
v_accvgpr_read_b32 v[vgprValuC+107], acc98 // copy acc to vreg[96]
v_accvgpr_read_b32 v[vgprValuC+108], acc102 // copy acc to vreg[97]
v_accvgpr_read_b32 v[vgprValuC+109], acc106 // copy acc to vreg[98]
v_accvgpr_read_b32 v[vgprValuC+110], acc75 // copy acc to vreg[99]
v_accvgpr_read_b32 v[vgprValuC+111], acc79 // copy acc to vreg[100]
v_accvgpr_read_b32 v[vgprValuC+112], acc83 // copy acc to vreg[101]
v_accvgpr_read_b32 v[vgprValuC+113], acc87 // copy acc to vreg[102]
v_accvgpr_read_b32 v[vgprValuC+114], acc91 // copy acc to vreg[103]
v_accvgpr_read_b32 v[vgprValuC+115], acc95 // copy acc to vreg[104]
v_accvgpr_read_b32 v[vgprValuC+116], acc99 // copy acc to vreg[105]
v_accvgpr_read_b32 v[vgprValuC+117], acc103 // copy acc to vreg[106]
v_accvgpr_read_b32 v[vgprValuC+118], acc107 // copy acc to vreg[107]
s_nop 1                                            // 2 wait states required before reading vgpr

/* rC *= alpha batchElements=[(0, 0, 0, 0), (0, 1, 0, 0), (0, 2, 0, 0), (0, 3, 0, 0), (0, 4, 0, 0), (0, 5, 0, 0), (0, 6, 0, 0), (0, 7, 0, 0), (0, 8, 0, 0), (0, 0, 1, 0), (0, 1, 1, 0), (0, 2, 1, 0), (0, 3, 1, 0), (0, 4, 1, 0), (0, 5, 1, 0), (0, 6, 1, 0), (0, 7, 1, 0), (0, 8, 1, 0), (0, 0, 2, 0), (0, 1, 2, 0), (0, 2, 2, 0), (0, 3, 2, 0), (0, 4, 2, 0), (0, 5, 2, 0), (0, 6, 2, 0), (0, 7, 2, 0), (0, 8, 2, 0), (0, 0, 3, 0), (0, 1, 3, 0), (0, 2, 3, 0), (0, 3, 3, 0), (0, 4, 3, 0), (0, 5, 3, 0), (0, 6, 3, 0), (0, 7, 3, 0), (0, 8, 3, 0), (1, 0, 0, 0), (1, 1, 0, 0), (1, 2, 0, 0), (1, 3, 0, 0), (1, 4, 0, 0), (1, 5, 0, 0), (1, 6, 0, 0), (1, 7, 0, 0), (1, 8, 0, 0), (1, 0, 1, 0), (1, 1, 1, 0), (1, 2, 1, 0), (1, 3, 1, 0), (1, 4, 1, 0), (1, 5, 1, 0), (1, 6, 1, 0), (1, 7, 1, 0), (1, 8, 1, 0), (1, 0, 2, 0), (1, 1, 2, 0), (1, 2, 2, 0), (1, 3, 2, 0), (1, 4, 2, 0), (1, 5, 2, 0), (1, 6, 2, 0), (1, 7, 2, 0), (1, 8, 2, 0), (1, 0, 3, 0), (1, 1, 3, 0), (1, 2, 3, 0), (1, 3, 3, 0), (1, 4, 3, 0), (1, 5, 3, 0), (1, 6, 3, 0), (1, 7, 3, 0), (1, 8, 3, 0), (2, 0, 0, 0), (2, 1, 0, 0), (2, 2, 0, 0), (2, 3, 0, 0), (2, 4, 0, 0), (2, 5, 0, 0), (2, 6, 0, 0), (2, 7, 0, 0), (2, 8, 0, 0), (2, 0, 1, 0), (2, 1, 1, 0), (2, 2, 1, 0), (2, 3, 1, 0), (2, 4, 1, 0), (2, 5, 1, 0), (2, 6, 1, 0), (2, 7, 1, 0), (2, 8, 1, 0), (2, 0, 2, 0), (2, 1, 2, 0), (2, 2, 2, 0), (2, 3, 2, 0), (2, 4, 2, 0), (2, 5, 2, 0), (2, 6, 2, 0), (2, 7, 2, 0), (2, 8, 2, 0), (2, 0, 3, 0), (2, 1, 3, 0), (2, 2, 3, 0), (2, 3, 3, 0), (2, 4, 3, 0), (2, 5, 3, 0), (2, 6, 3, 0), (2, 7, 3, 0), (2, 8, 3, 0)] */
v_mul_f32 v[vgprValuC+8], s[sgprAlpha], v[vgprValuC+8] // *= alpha
v_mul_f32 v[vgprValuC+9], s[sgprAlpha], v[vgprValuC+9] // *= alpha
	;; [unrolled: 1-line block ×108, first 2 shown]

/* apply mask, calc new C and issue writes */
v_cvt_f16_f32 v[vgprValuC+8], v[vgprValuC+8]       // convert C to fp16
_buffer_store_b16 v8, v6, s[sgprSrdD:sgprSrdD+3], 0, offen, offset:0 // store D
v_cvt_f16_f32 v[vgprValuC+9], v[vgprValuC+9]       // convert C to fp16
_buffer_store_b16 v9, v6, s[sgprSrdD:sgprSrdD+3], 0, offen, offset:32 // store D
v_cvt_f16_f32 v[vgprValuC+10], v[vgprValuC+10]     // convert C to fp16
_buffer_store_b16 v10, v6, s[sgprSrdD:sgprSrdD+3], 0, offen, offset:64 // store D
v_cvt_f16_f32 v[vgprValuC+11], v[vgprValuC+11]     // convert C to fp16
_buffer_store_b16 v11, v6, s[sgprSrdD:sgprSrdD+3], 0, offen, offset:96 // store D
v_cvt_f16_f32 v[vgprValuC+12], v[vgprValuC+12]     // convert C to fp16
_buffer_store_b16 v12, v6, s[sgprSrdD:sgprSrdD+3], 0, offen, offset:128 // store D
v_cvt_f16_f32 v[vgprValuC+13], v[vgprValuC+13]     // convert C to fp16
_buffer_store_b16 v13, v6, s[sgprSrdD:sgprSrdD+3], 0, offen, offset:160 // store D
v_cvt_f16_f32 v[vgprValuC+14], v[vgprValuC+14]     // convert C to fp16
_buffer_store_b16 v14, v6, s[sgprSrdD:sgprSrdD+3], 0, offen, offset:192 // store D
v_cvt_f16_f32 v[vgprValuC+15], v[vgprValuC+15]     // convert C to fp16
_buffer_store_b16 v15, v6, s[sgprSrdD:sgprSrdD+3], 0, offen, offset:224 // store D
v_cvt_f16_f32 v[vgprValuC+16], v[vgprValuC+16]     // convert C to fp16
_buffer_store_b16 v16, v6, s[sgprSrdD:sgprSrdD+3], 0, offen, offset:256 // store D
v_cvt_f16_f32 v[vgprValuC+17], v[vgprValuC+17]     // convert C to fp16
s_lshl_b32  s52, s[sgprStrideD1J], 1               // incToNextRow: Scale by BPE
s_add_u32  s[sgprSrdD+0], s[sgprSrdD+0], s52       // incToNextRow: gra SRD += inc(lower)
s_addc_u32  s[sgprSrdD+1], s[sgprSrdD+1], 0        // incToNextRow: gra SRD += inc(upper)
_buffer_store_b16 v17, v6, s[sgprSrdD:sgprSrdD+3], 0, offen, offset:0 // store D
v_cvt_f16_f32 v[vgprValuC+18], v[vgprValuC+18]     // convert C to fp16
_buffer_store_b16 v18, v6, s[sgprSrdD:sgprSrdD+3], 0, offen, offset:32 // store D
v_cvt_f16_f32 v[vgprValuC+19], v[vgprValuC+19]     // convert C to fp16
_buffer_store_b16 v19, v6, s[sgprSrdD:sgprSrdD+3], 0, offen, offset:64 // store D
v_cvt_f16_f32 v[vgprValuC+20], v[vgprValuC+20]     // convert C to fp16
_buffer_store_b16 v20, v6, s[sgprSrdD:sgprSrdD+3], 0, offen, offset:96 // store D
v_cvt_f16_f32 v[vgprValuC+21], v[vgprValuC+21]     // convert C to fp16
_buffer_store_b16 v21, v6, s[sgprSrdD:sgprSrdD+3], 0, offen, offset:128 // store D
v_cvt_f16_f32 v[vgprValuC+22], v[vgprValuC+22]     // convert C to fp16
_buffer_store_b16 v22, v6, s[sgprSrdD:sgprSrdD+3], 0, offen, offset:160 // store D
v_cvt_f16_f32 v[vgprValuC+23], v[vgprValuC+23]     // convert C to fp16
_buffer_store_b16 v23, v6, s[sgprSrdD:sgprSrdD+3], 0, offen, offset:192 // store D
v_cvt_f16_f32 v[vgprValuC+24], v[vgprValuC+24]     // convert C to fp16
_buffer_store_b16 v24, v6, s[sgprSrdD:sgprSrdD+3], 0, offen, offset:224 // store D
v_cvt_f16_f32 v[vgprValuC+25], v[vgprValuC+25]     // convert C to fp16
_buffer_store_b16 v25, v6, s[sgprSrdD:sgprSrdD+3], 0, offen, offset:256 // store D
v_cvt_f16_f32 v[vgprValuC+26], v[vgprValuC+26]     // convert C to fp16
s_lshl_b32  s52, s[sgprStrideD1J], 1               // incToNextRow: Scale by BPE
s_add_u32  s[sgprSrdD+0], s[sgprSrdD+0], s52       // incToNextRow: gra SRD += inc(lower)
s_addc_u32  s[sgprSrdD+1], s[sgprSrdD+1], 0        // incToNextRow: gra SRD += inc(upper)
_buffer_store_b16 v26, v6, s[sgprSrdD:sgprSrdD+3], 0, offen, offset:0 // store D
v_cvt_f16_f32 v[vgprValuC+27], v[vgprValuC+27]     // convert C to fp16
	;; [unrolled: 21-line block ×3, first 2 shown]
_buffer_store_b16 v36, v6, s[sgprSrdD:sgprSrdD+3], 0, offen, offset:32 // store D
v_cvt_f16_f32 v[vgprValuC+37], v[vgprValuC+37]     // convert C to fp16
_buffer_store_b16 v37, v6, s[sgprSrdD:sgprSrdD+3], 0, offen, offset:64 // store D
v_cvt_f16_f32 v[vgprValuC+38], v[vgprValuC+38]     // convert C to fp16
	;; [unrolled: 2-line block ×8, first 2 shown]
s_mul_i32 s52, s[sgprStrideD1J], 122               // scale StrideD *= numRows(61) * bpe
s_add_u32  s[sgprSrdD+0], s[sgprSrdD+0], s52       // incToNextRow: gra SRD += inc(lower)
s_addc_u32  s[sgprSrdD+1], s[sgprSrdD+1], 0        // incToNextRow: gra SRD += inc(upper)
_buffer_store_b16 v44, v6, s[sgprSrdD:sgprSrdD+3], 0, offen, offset:0 // store D
v_cvt_f16_f32 v[vgprValuC+45], v[vgprValuC+45]     // convert C to fp16
_buffer_store_b16 v45, v6, s[sgprSrdD:sgprSrdD+3], 0, offen, offset:32 // store D
v_cvt_f16_f32 v[vgprValuC+46], v[vgprValuC+46]     // convert C to fp16
_buffer_store_b16 v46, v6, s[sgprSrdD:sgprSrdD+3], 0, offen, offset:64 // store D
v_cvt_f16_f32 v[vgprValuC+47], v[vgprValuC+47]     // convert C to fp16
_buffer_store_b16 v47, v6, s[sgprSrdD:sgprSrdD+3], 0, offen, offset:96 // store D
v_cvt_f16_f32 v[vgprValuC+48], v[vgprValuC+48]     // convert C to fp16
_buffer_store_b16 v48, v6, s[sgprSrdD:sgprSrdD+3], 0, offen, offset:128 // store D
v_cvt_f16_f32 v[vgprValuC+49], v[vgprValuC+49]     // convert C to fp16
_buffer_store_b16 v49, v6, s[sgprSrdD:sgprSrdD+3], 0, offen, offset:160 // store D
v_cvt_f16_f32 v[vgprValuC+50], v[vgprValuC+50]     // convert C to fp16
_buffer_store_b16 v50, v6, s[sgprSrdD:sgprSrdD+3], 0, offen, offset:192 // store D
v_cvt_f16_f32 v[vgprValuC+51], v[vgprValuC+51]     // convert C to fp16
_buffer_store_b16 v51, v6, s[sgprSrdD:sgprSrdD+3], 0, offen, offset:224 // store D
v_cvt_f16_f32 v[vgprValuC+52], v[vgprValuC+52]     // convert C to fp16
_buffer_store_b16 v52, v6, s[sgprSrdD:sgprSrdD+3], 0, offen, offset:256 // store D
v_cvt_f16_f32 v[vgprValuC+53], v[vgprValuC+53]     // convert C to fp16
s_lshl_b32  s52, s[sgprStrideD1J], 1               // incToNextRow: Scale by BPE
s_add_u32  s[sgprSrdD+0], s[sgprSrdD+0], s52       // incToNextRow: gra SRD += inc(lower)
s_addc_u32  s[sgprSrdD+1], s[sgprSrdD+1], 0        // incToNextRow: gra SRD += inc(upper)
_buffer_store_b16 v53, v6, s[sgprSrdD:sgprSrdD+3], 0, offen, offset:0 // store D
v_cvt_f16_f32 v[vgprValuC+54], v[vgprValuC+54]     // convert C to fp16
_buffer_store_b16 v54, v6, s[sgprSrdD:sgprSrdD+3], 0, offen, offset:32 // store D
v_cvt_f16_f32 v[vgprValuC+55], v[vgprValuC+55]     // convert C to fp16
_buffer_store_b16 v55, v6, s[sgprSrdD:sgprSrdD+3], 0, offen, offset:64 // store D
v_cvt_f16_f32 v[vgprValuC+56], v[vgprValuC+56]     // convert C to fp16
_buffer_store_b16 v56, v6, s[sgprSrdD:sgprSrdD+3], 0, offen, offset:96 // store D
v_cvt_f16_f32 v[vgprValuC+57], v[vgprValuC+57]     // convert C to fp16
_buffer_store_b16 v57, v6, s[sgprSrdD:sgprSrdD+3], 0, offen, offset:128 // store D
v_cvt_f16_f32 v[vgprValuC+58], v[vgprValuC+58]     // convert C to fp16
_buffer_store_b16 v58, v6, s[sgprSrdD:sgprSrdD+3], 0, offen, offset:160 // store D
v_cvt_f16_f32 v[vgprValuC+59], v[vgprValuC+59]     // convert C to fp16
_buffer_store_b16 v59, v6, s[sgprSrdD:sgprSrdD+3], 0, offen, offset:192 // store D
v_cvt_f16_f32 v[vgprValuC+60], v[vgprValuC+60]     // convert C to fp16
_buffer_store_b16 v60, v6, s[sgprSrdD:sgprSrdD+3], 0, offen, offset:224 // store D
v_cvt_f16_f32 v[vgprValuC+61], v[vgprValuC+61]     // convert C to fp16
_buffer_store_b16 v61, v6, s[sgprSrdD:sgprSrdD+3], 0, offen, offset:256 // store D
v_cvt_f16_f32 v[vgprValuC+62], v[vgprValuC+62]     // convert C to fp16
s_lshl_b32  s52, s[sgprStrideD1J], 1               // incToNextRow: Scale by BPE
	;; [unrolled: 21-line block ×3, first 2 shown]
s_add_u32  s[sgprSrdD+0], s[sgprSrdD+0], s52       // incToNextRow: gra SRD += inc(lower)
s_addc_u32  s[sgprSrdD+1], s[sgprSrdD+1], 0        // incToNextRow: gra SRD += inc(upper)
_buffer_store_b16 v71, v6, s[sgprSrdD:sgprSrdD+3], 0, offen, offset:0 // store D
v_cvt_f16_f32 v[vgprValuC+72], v[vgprValuC+72]     // convert C to fp16
_buffer_store_b16 v72, v6, s[sgprSrdD:sgprSrdD+3], 0, offen, offset:32 // store D
v_cvt_f16_f32 v[vgprValuC+73], v[vgprValuC+73]     // convert C to fp16
_buffer_store_b16 v73, v6, s[sgprSrdD:sgprSrdD+3], 0, offen, offset:64 // store D
v_cvt_f16_f32 v[vgprValuC+74], v[vgprValuC+74]     // convert C to fp16
_buffer_store_b16 v74, v6, s[sgprSrdD:sgprSrdD+3], 0, offen, offset:96 // store D
v_cvt_f16_f32 v[vgprValuC+75], v[vgprValuC+75]     // convert C to fp16
_buffer_store_b16 v75, v6, s[sgprSrdD:sgprSrdD+3], 0, offen, offset:128 // store D
v_cvt_f16_f32 v[vgprValuC+76], v[vgprValuC+76]     // convert C to fp16
_buffer_store_b16 v76, v6, s[sgprSrdD:sgprSrdD+3], 0, offen, offset:160 // store D
v_cvt_f16_f32 v[vgprValuC+77], v[vgprValuC+77]     // convert C to fp16
_buffer_store_b16 v77, v6, s[sgprSrdD:sgprSrdD+3], 0, offen, offset:192 // store D
v_cvt_f16_f32 v[vgprValuC+78], v[vgprValuC+78]     // convert C to fp16
_buffer_store_b16 v78, v6, s[sgprSrdD:sgprSrdD+3], 0, offen, offset:224 // store D
v_cvt_f16_f32 v[vgprValuC+79], v[vgprValuC+79]     // convert C to fp16
_buffer_store_b16 v79, v6, s[sgprSrdD:sgprSrdD+3], 0, offen, offset:256 // store D
v_cvt_f16_f32 v[vgprValuC+80], v[vgprValuC+80]     // convert C to fp16
s_mul_i32 s52, s[sgprStrideD1J], 122               // scale StrideD *= numRows(61) * bpe
s_add_u32  s[sgprSrdD+0], s[sgprSrdD+0], s52       // incToNextRow: gra SRD += inc(lower)
s_addc_u32  s[sgprSrdD+1], s[sgprSrdD+1], 0        // incToNextRow: gra SRD += inc(upper)
_buffer_store_b16 v80, v6, s[sgprSrdD:sgprSrdD+3], 0, offen, offset:0 // store D
v_cvt_f16_f32 v[vgprValuC+81], v[vgprValuC+81]     // convert C to fp16
_buffer_store_b16 v81, v6, s[sgprSrdD:sgprSrdD+3], 0, offen, offset:32 // store D
v_cvt_f16_f32 v[vgprValuC+82], v[vgprValuC+82]     // convert C to fp16
	;; [unrolled: 2-line block ×9, first 2 shown]
s_lshl_b32  s52, s[sgprStrideD1J], 1               // incToNextRow: Scale by BPE
s_add_u32  s[sgprSrdD+0], s[sgprSrdD+0], s52       // incToNextRow: gra SRD += inc(lower)
s_addc_u32  s[sgprSrdD+1], s[sgprSrdD+1], 0        // incToNextRow: gra SRD += inc(upper)
_buffer_store_b16 v89, v6, s[sgprSrdD:sgprSrdD+3], 0, offen, offset:0 // store D
v_cvt_f16_f32 v[vgprValuC+90], v[vgprValuC+90]     // convert C to fp16
_buffer_store_b16 v90, v6, s[sgprSrdD:sgprSrdD+3], 0, offen, offset:32 // store D
v_cvt_f16_f32 v[vgprValuC+91], v[vgprValuC+91]     // convert C to fp16
	;; [unrolled: 2-line block ×7, first 2 shown]
_buffer_store_b16 v99, v6, s[sgprSrdD:sgprSrdD+3], 0, offen, offset:224 // store D
v_cvt_f16_f32 v[vgprValuC+100], v[vgprValuC+100]   // convert C to fp16
_buffer_store_b16 v100, v6, s[sgprSrdD:sgprSrdD+3], 0, offen, offset:256 // store D
v_cvt_f16_f32 v[vgprValuC+101], v[vgprValuC+101]   // convert C to fp16
s_lshl_b32  s52, s[sgprStrideD1J], 1               // incToNextRow: Scale by BPE
s_add_u32  s[sgprSrdD+0], s[sgprSrdD+0], s52       // incToNextRow: gra SRD += inc(lower)
s_addc_u32  s[sgprSrdD+1], s[sgprSrdD+1], 0        // incToNextRow: gra SRD += inc(upper)
_buffer_store_b16 v101, v6, s[sgprSrdD:sgprSrdD+3], 0, offen, offset:0 // store D
v_cvt_f16_f32 v[vgprValuC+102], v[vgprValuC+102]   // convert C to fp16
_buffer_store_b16 v102, v6, s[sgprSrdD:sgprSrdD+3], 0, offen, offset:32 // store D
v_cvt_f16_f32 v[vgprValuC+103], v[vgprValuC+103]   // convert C to fp16
	;; [unrolled: 2-line block ×9, first 2 shown]
s_lshl_b32  s52, s[sgprStrideD1J], 1               // incToNextRow: Scale by BPE
s_add_u32  s[sgprSrdD+0], s[sgprSrdD+0], s52       // incToNextRow: gra SRD += inc(lower)
s_addc_u32  s[sgprSrdD+1], s[sgprSrdD+1], 0        // incToNextRow: gra SRD += inc(upper)
_buffer_store_b16 v110, v6, s[sgprSrdD:sgprSrdD+3], 0, offen, offset:0 // store D
v_cvt_f16_f32 v[vgprValuC+111], v[vgprValuC+111]   // convert C to fp16
_buffer_store_b16 v111, v6, s[sgprSrdD:sgprSrdD+3], 0, offen, offset:32 // store D
v_cvt_f16_f32 v[vgprValuC+112], v[vgprValuC+112]   // convert C to fp16
	;; [unrolled: 2-line block ×8, first 2 shown]
_buffer_store_b16 v118, v6, s[sgprSrdD:sgprSrdD+3], 0, offen, offset:256 // store D
s_nop 0                                            // 1 wait state required when next inst writes vgprs held by previous dwordx4 store inst
s_branch label_GW_End_44                           // jump to end
GW_B0_E1_36:

/* edge=1, allocate 6 sgpr. perBatchTmpS=4 perBatchMaskS=2 perElementMaskS=0 elementsPerBatch=122 */
/* optSingleColVgpr=0 optSharedColVgpr=0 optSGPRUsage=BufferLoad_Edge_Mask optSrdIncForRow=0 */

/******************************************/
/* Global Write Alpha Edge Batch #0 (d1,d0,vc1,vc0) = */
/*    (0,0,0,0:vw1); (0,1,0,0:vw1); (0,2,0,0:vw1); (0,3,0,0:vw1); (0,4,0,0:vw1); (0,5,0,0:vw1); (0,6,0,0:vw1); (0,7,0,0:vw1); (0,8,0,0:vw1); (0,0,1,0:vw1); (0,1,1,0:vw1); (0,2,1,0:vw1); (0,3,1,0:vw1); (0,4,1,0:vw1); (0,5,1,0:vw1); (0,6,1,0:vw1); (0,7,1,0:vw1); (0,8,1,0:vw1); (0,0,2,0:vw1); (0,1,2,0:vw1); (0,2,2,0:vw1); (0,3,2,0:vw1); (0,4,2,0:vw1); (0,5,2,0:vw1); (0,6,2,0:vw1); (0,7,2,0:vw1); (0,8,2,0:vw1); (0,0,3,0:vw1); (0,1,3,0:vw1); (0,2,3,0:vw1); (0,3,3,0:vw1); (0,4,3,0:vw1); (0,5,3,0:vw1); (0,6,3,0:vw1); (0,7,3,0:vw1); (0,8,3,0:vw1); (1,0,0,0:vw1); (1,1,0,0:vw1); (1,2,0,0:vw1); (1,3,0,0:vw1); (1,4,0,0:vw1); (1,5,0,0:vw1); (1,6,0,0:vw1); (1,7,0,0:vw1); (1,8,0,0:vw1); (1,0,1,0:vw1); (1,1,1,0:vw1); (1,2,1,0:vw1); (1,3,1,0:vw1); (1,4,1,0:vw1); (1,5,1,0:vw1); (1,6,1,0:vw1); (1,7,1,0:vw1); (1,8,1,0:vw1); (1,0,2,0:vw1); (1,1,2,0:vw1); (1,2,2,0:vw1); (1,3,2,0:vw1); (1,4,2,0:vw1); (1,5,2,0:vw1); (1,6,2,0:vw1); (1,7,2,0:vw1); (1,8,2,0:vw1); (1,0,3,0:vw1); (1,1,3,0:vw1); (1,2,3,0:vw1); (1,3,3,0:vw1); (1,4,3,0:vw1); (1,5,3,0:vw1); (1,6,3,0:vw1); (1,7,3,0:vw1); (1,8,3,0:vw1); (2,0,0,0:vw1); (2,1,0,0:vw1); (2,2,0,0:vw1); (2,3,0,0:vw1); (2,4,0,0:vw1); (2,5,0,0:vw1); (2,6,0,0:vw1); (2,7,0,0:vw1); (2,8,0,0:vw1); (2,0,1,0:vw1); (2,1,1,0:vw1); (2,2,1,0:vw1); (2,3,1,0:vw1); (2,4,1,0:vw1); (2,5,1,0:vw1); (2,6,1,0:vw1); (2,7,1,0:vw1); (2,8,1,0:vw1); (2,0,2,0:vw1); (2,1,2,0:vw1); (2,2,2,0:vw1); (2,3,2,0:vw1); (2,4,2,0:vw1); (2,5,2,0:vw1); (2,6,2,0:vw1); (2,7,2,0:vw1); (2,8,2,0:vw1); (2,0,3,0:vw1); (2,1,3,0:vw1); (2,2,3,0:vw1); (2,3,3,0:vw1); (2,4,3,0:vw1); (2,5,3,0:vw1); (2,6,3,0:vw1); (2,7,3,0:vw1); (2,8,3,0:vw1) */
/******************************************/

/* calc coords, apply mask, and issue loads (if necessary) */
/* (d1,vc1,d0,vc0)=(0,0,0,0) */
v_cmp_lt_u32 s[52:53], v0, s[sgprSizeI]            // coord0 < size0
v_cmp_lt_u32 s[56:57], v1, s[sgprSizeJ]            // coord1 < size1
s_and_b64 s[56:57], s[52:53], s[56:57]             // in0 && in1
_v_add_lshl_u32 v6, v3, v0, 0x1                    // scaleToBpe: accumulate d0 lower and *= bpe into Cin addr
v_cndmask_b32 v6, -1, v6, s[56:57]                 // LDD clip if OOB. offset
/* (d1,vc1,d0,vc0)=(0,0,1,0) */
_v_add_co_u32 v4, vcc, v0, 16                      // coord0.1: coord0 += d0*sg0*VW + vc0
v_cmp_lt_u32 s[52:53], v4, s[sgprSizeI]            // coord0 < size0
v_cmp_lt_u32 s[56:57], v1, s[sgprSizeJ]            // coord1 < size1
s_and_b64 s[56:57], s[52:53], s[56:57]             // in0 && in1
_v_add_lshl_u32 v8, v3, v4, 0x1                    // scaleToBpe: accumulate d0 lower and *= bpe into Cin addr
v_cndmask_b32 v8, -1, v8, s[56:57]                 // LDD clip if OOB. offset
/* (d1,vc1,d0,vc0)=(0,0,2,0) */
_v_add_co_u32 v4, vcc, v0, 32                      // coord0.1: coord0 += d0*sg0*VW + vc0
v_cmp_lt_u32 s[52:53], v4, s[sgprSizeI]            // coord0 < size0
v_cmp_lt_u32 s[56:57], v1, s[sgprSizeJ]            // coord1 < size1
s_and_b64 s[56:57], s[52:53], s[56:57]             // in0 && in1
_v_add_lshl_u32 v10, v3, v4, 0x1                   // scaleToBpe: accumulate d0 lower and *= bpe into Cin addr
v_cndmask_b32 v10, -1, v10, s[56:57]               // LDD clip if OOB. offset
/* (d1,vc1,d0,vc0)=(0,0,3,0) */
_v_add_co_u32 v4, vcc, v0, 48                      // coord0.1: coord0 += d0*sg0*VW + vc0
v_cmp_lt_u32 s[52:53], v4, s[sgprSizeI]            // coord0 < size0
v_cmp_lt_u32 s[56:57], v1, s[sgprSizeJ]            // coord1 < size1
s_and_b64 s[56:57], s[52:53], s[56:57]             // in0 && in1
_v_add_lshl_u32 v12, v3, v4, 0x1                   // scaleToBpe: accumulate d0 lower and *= bpe into Cin addr
v_cndmask_b32 v12, -1, v12, s[56:57]               // LDD clip if OOB. offset
	;; [unrolled: 7-line block ×3, first 2 shown]
/* (d1,vc1,d0,vc0)=(0,0,5,0) */
s_mov_b32 s52, 80                                  // coordOffset0 d0=5 vc0=0
_v_add_co_u32 v4, vcc, v0, s52                     // coord0.2: coord0 += d0*sg0*VW + vc0
v_cmp_lt_u32 s[52:53], v4, s[sgprSizeI]            // coord0 < size0
v_cmp_lt_u32 s[56:57], v1, s[sgprSizeJ]            // coord1 < size1
s_and_b64 s[56:57], s[52:53], s[56:57]             // in0 && in1
_v_add_lshl_u32 v16, v3, v4, 0x1                   // scaleToBpe: accumulate d0 lower and *= bpe into Cin addr
v_cndmask_b32 v16, -1, v16, s[56:57]               // LDD clip if OOB. offset
/* (d1,vc1,d0,vc0)=(0,0,6,0) */
s_mov_b32 s52, 96                                  // coordOffset0 d0=6 vc0=0
_v_add_co_u32 v4, vcc, v0, s52                     // coord0.2: coord0 += d0*sg0*VW + vc0
v_cmp_lt_u32 s[52:53], v4, s[sgprSizeI]            // coord0 < size0
v_cmp_lt_u32 s[56:57], v1, s[sgprSizeJ]            // coord1 < size1
s_and_b64 s[56:57], s[52:53], s[56:57]             // in0 && in1
_v_add_lshl_u32 v18, v3, v4, 0x1                   // scaleToBpe: accumulate d0 lower and *= bpe into Cin addr
v_cndmask_b32 v18, -1, v18, s[56:57]               // LDD clip if OOB. offset
/* (d1,vc1,d0,vc0)=(0,0,7,0) */
s_mov_b32 s52, 112                                 // coordOffset0 d0=7 vc0=0
_v_add_co_u32 v4, vcc, v0, s52                     // coord0.2: coord0 += d0*sg0*VW + vc0
v_cmp_lt_u32 s[52:53], v4, s[sgprSizeI]            // coord0 < size0
v_cmp_lt_u32 s[56:57], v1, s[sgprSizeJ]            // coord1 < size1
s_and_b64 s[56:57], s[52:53], s[56:57]             // in0 && in1
_v_add_lshl_u32 v20, v3, v4, 0x1                   // scaleToBpe: accumulate d0 lower and *= bpe into Cin addr
v_cndmask_b32 v20, -1, v20, s[56:57]               // LDD clip if OOB. offset
/* (d1,vc1,d0,vc0)=(0,0,8,0) */
s_mov_b32 s52, 128                                 // coordOffset0 d0=8 vc0=0
_v_add_co_u32 v4, vcc, v0, s52                     // coord0.2: coord0 += d0*sg0*VW + vc0
v_cmp_lt_u32 s[52:53], v4, s[sgprSizeI]            // coord0 < size0
v_cmp_lt_u32 s[56:57], v1, s[sgprSizeJ]            // coord1 < size1
s_and_b64 s[56:57], s[52:53], s[56:57]             // in0 && in1
_v_add_lshl_u32 v22, v3, v4, 0x1                   // scaleToBpe: accumulate d0 lower and *= bpe into Cin addr
v_cndmask_b32 v22, -1, v22, s[56:57]               // LDD clip if OOB. offset
/* (d1,vc1,d0,vc0)=(0,1,0,0) */
_v_add_co_u32 v1, vcc, v1, 1                       // coord1.1: coord1Vgpr += d1*sg1*VW + vc1

/* Fix for UseInitialStridesCD, emitAddressSetupCode */
_v_add_u32 v2, v2, s[sgprStrideC1J]                // ROWINC- Move cinRowPtr to next row
_v_add_u32 v3, v3, s[sgprStrideD1J]                // Move coutRowPtr to next row
v_cmp_lt_u32 s[52:53], v0, s[sgprSizeI]            // coord0 < size0
v_cmp_lt_u32 s[56:57], v1, s[sgprSizeJ]            // coord1 < size1
s_and_b64 s[56:57], s[52:53], s[56:57]             // in0 && in1
_v_add_lshl_u32 v24, v3, v0, 0x1                   // scaleToBpe: accumulate d0 lower and *= bpe into Cin addr
v_cndmask_b32 v24, -1, v24, s[56:57]               // LDD clip if OOB. offset
/* (d1,vc1,d0,vc0)=(0,1,1,0) */
_v_add_co_u32 v4, vcc, v0, 16                      // coord0.1: coord0 += d0*sg0*VW + vc0
v_cmp_lt_u32 s[52:53], v4, s[sgprSizeI]            // coord0 < size0
v_cmp_lt_u32 s[56:57], v1, s[sgprSizeJ]            // coord1 < size1
s_and_b64 s[56:57], s[52:53], s[56:57]             // in0 && in1
_v_add_lshl_u32 v26, v3, v4, 0x1                   // scaleToBpe: accumulate d0 lower and *= bpe into Cin addr
v_cndmask_b32 v26, -1, v26, s[56:57]               // LDD clip if OOB. offset
/* (d1,vc1,d0,vc0)=(0,1,2,0) */
_v_add_co_u32 v4, vcc, v0, 32                      // coord0.1: coord0 += d0*sg0*VW + vc0
	;; [unrolled: 7-line block ×4, first 2 shown]
v_cmp_lt_u32 s[52:53], v4, s[sgprSizeI]            // coord0 < size0
v_cmp_lt_u32 s[56:57], v1, s[sgprSizeJ]            // coord1 < size1
s_and_b64 s[56:57], s[52:53], s[56:57]             // in0 && in1
_v_add_lshl_u32 v32, v3, v4, 0x1                   // scaleToBpe: accumulate d0 lower and *= bpe into Cin addr
v_cndmask_b32 v32, -1, v32, s[56:57]               // LDD clip if OOB. offset
/* (d1,vc1,d0,vc0)=(0,1,5,0) */
s_mov_b32 s52, 80                                  // coordOffset0 d0=5 vc0=0
_v_add_co_u32 v4, vcc, v0, s52                     // coord0.2: coord0 += d0*sg0*VW + vc0
v_cmp_lt_u32 s[52:53], v4, s[sgprSizeI]            // coord0 < size0
v_cmp_lt_u32 s[56:57], v1, s[sgprSizeJ]            // coord1 < size1
s_and_b64 s[56:57], s[52:53], s[56:57]             // in0 && in1
_v_add_lshl_u32 v34, v3, v4, 0x1                   // scaleToBpe: accumulate d0 lower and *= bpe into Cin addr
v_cndmask_b32 v34, -1, v34, s[56:57]               // LDD clip if OOB. offset
/* (d1,vc1,d0,vc0)=(0,1,6,0) */
s_mov_b32 s52, 96                                  // coordOffset0 d0=6 vc0=0
_v_add_co_u32 v4, vcc, v0, s52                     // coord0.2: coord0 += d0*sg0*VW + vc0
v_cmp_lt_u32 s[52:53], v4, s[sgprSizeI]            // coord0 < size0
v_cmp_lt_u32 s[56:57], v1, s[sgprSizeJ]            // coord1 < size1
s_and_b64 s[56:57], s[52:53], s[56:57]             // in0 && in1
_v_add_lshl_u32 v36, v3, v4, 0x1                   // scaleToBpe: accumulate d0 lower and *= bpe into Cin addr
v_cndmask_b32 v36, -1, v36, s[56:57]               // LDD clip if OOB. offset
/* (d1,vc1,d0,vc0)=(0,1,7,0) */
s_mov_b32 s52, 112                                 // coordOffset0 d0=7 vc0=0
_v_add_co_u32 v4, vcc, v0, s52                     // coord0.2: coord0 += d0*sg0*VW + vc0
v_cmp_lt_u32 s[52:53], v4, s[sgprSizeI]            // coord0 < size0
v_cmp_lt_u32 s[56:57], v1, s[sgprSizeJ]            // coord1 < size1
s_and_b64 s[56:57], s[52:53], s[56:57]             // in0 && in1
_v_add_lshl_u32 v38, v3, v4, 0x1                   // scaleToBpe: accumulate d0 lower and *= bpe into Cin addr
v_cndmask_b32 v38, -1, v38, s[56:57]               // LDD clip if OOB. offset
/* (d1,vc1,d0,vc0)=(0,1,8,0) */
s_mov_b32 s52, 128                                 // coordOffset0 d0=8 vc0=0
_v_add_co_u32 v4, vcc, v0, s52                     // coord0.2: coord0 += d0*sg0*VW + vc0
v_cmp_lt_u32 s[52:53], v4, s[sgprSizeI]            // coord0 < size0
v_cmp_lt_u32 s[56:57], v1, s[sgprSizeJ]            // coord1 < size1
s_and_b64 s[56:57], s[52:53], s[56:57]             // in0 && in1
_v_add_lshl_u32 v40, v3, v4, 0x1                   // scaleToBpe: accumulate d0 lower and *= bpe into Cin addr
v_cndmask_b32 v40, -1, v40, s[56:57]               // LDD clip if OOB. offset
/* (d1,vc1,d0,vc0)=(0,2,0,0) */
_v_add_co_u32 v1, vcc, v1, 1                       // coord1.1: coord1Vgpr += d1*sg1*VW + vc1

/* Fix for UseInitialStridesCD, emitAddressSetupCode */
_v_add_u32 v2, v2, s[sgprStrideC1J]                // ROWINC- Move cinRowPtr to next row
_v_add_u32 v3, v3, s[sgprStrideD1J]                // Move coutRowPtr to next row
v_cmp_lt_u32 s[52:53], v0, s[sgprSizeI]            // coord0 < size0
v_cmp_lt_u32 s[56:57], v1, s[sgprSizeJ]            // coord1 < size1
s_and_b64 s[56:57], s[52:53], s[56:57]             // in0 && in1
_v_add_lshl_u32 v42, v3, v0, 0x1                   // scaleToBpe: accumulate d0 lower and *= bpe into Cin addr
v_cndmask_b32 v42, -1, v42, s[56:57]               // LDD clip if OOB. offset
/* (d1,vc1,d0,vc0)=(0,2,1,0) */
_v_add_co_u32 v4, vcc, v0, 16                      // coord0.1: coord0 += d0*sg0*VW + vc0
v_cmp_lt_u32 s[52:53], v4, s[sgprSizeI]            // coord0 < size0
v_cmp_lt_u32 s[56:57], v1, s[sgprSizeJ]            // coord1 < size1
s_and_b64 s[56:57], s[52:53], s[56:57]             // in0 && in1
_v_add_lshl_u32 v44, v3, v4, 0x1                   // scaleToBpe: accumulate d0 lower and *= bpe into Cin addr
v_cndmask_b32 v44, -1, v44, s[56:57]               // LDD clip if OOB. offset
/* (d1,vc1,d0,vc0)=(0,2,2,0) */
_v_add_co_u32 v4, vcc, v0, 32                      // coord0.1: coord0 += d0*sg0*VW + vc0
	;; [unrolled: 7-line block ×4, first 2 shown]
v_cmp_lt_u32 s[52:53], v4, s[sgprSizeI]            // coord0 < size0
v_cmp_lt_u32 s[56:57], v1, s[sgprSizeJ]            // coord1 < size1
s_and_b64 s[56:57], s[52:53], s[56:57]             // in0 && in1
_v_add_lshl_u32 v50, v3, v4, 0x1                   // scaleToBpe: accumulate d0 lower and *= bpe into Cin addr
v_cndmask_b32 v50, -1, v50, s[56:57]               // LDD clip if OOB. offset
/* (d1,vc1,d0,vc0)=(0,2,5,0) */
s_mov_b32 s52, 80                                  // coordOffset0 d0=5 vc0=0
_v_add_co_u32 v4, vcc, v0, s52                     // coord0.2: coord0 += d0*sg0*VW + vc0
v_cmp_lt_u32 s[52:53], v4, s[sgprSizeI]            // coord0 < size0
v_cmp_lt_u32 s[56:57], v1, s[sgprSizeJ]            // coord1 < size1
s_and_b64 s[56:57], s[52:53], s[56:57]             // in0 && in1
_v_add_lshl_u32 v52, v3, v4, 0x1                   // scaleToBpe: accumulate d0 lower and *= bpe into Cin addr
v_cndmask_b32 v52, -1, v52, s[56:57]               // LDD clip if OOB. offset
/* (d1,vc1,d0,vc0)=(0,2,6,0) */
s_mov_b32 s52, 96                                  // coordOffset0 d0=6 vc0=0
_v_add_co_u32 v4, vcc, v0, s52                     // coord0.2: coord0 += d0*sg0*VW + vc0
v_cmp_lt_u32 s[52:53], v4, s[sgprSizeI]            // coord0 < size0
v_cmp_lt_u32 s[56:57], v1, s[sgprSizeJ]            // coord1 < size1
s_and_b64 s[56:57], s[52:53], s[56:57]             // in0 && in1
_v_add_lshl_u32 v54, v3, v4, 0x1                   // scaleToBpe: accumulate d0 lower and *= bpe into Cin addr
v_cndmask_b32 v54, -1, v54, s[56:57]               // LDD clip if OOB. offset
/* (d1,vc1,d0,vc0)=(0,2,7,0) */
s_mov_b32 s52, 112                                 // coordOffset0 d0=7 vc0=0
_v_add_co_u32 v4, vcc, v0, s52                     // coord0.2: coord0 += d0*sg0*VW + vc0
v_cmp_lt_u32 s[52:53], v4, s[sgprSizeI]            // coord0 < size0
v_cmp_lt_u32 s[56:57], v1, s[sgprSizeJ]            // coord1 < size1
s_and_b64 s[56:57], s[52:53], s[56:57]             // in0 && in1
_v_add_lshl_u32 v56, v3, v4, 0x1                   // scaleToBpe: accumulate d0 lower and *= bpe into Cin addr
v_cndmask_b32 v56, -1, v56, s[56:57]               // LDD clip if OOB. offset
/* (d1,vc1,d0,vc0)=(0,2,8,0) */
s_mov_b32 s52, 128                                 // coordOffset0 d0=8 vc0=0
_v_add_co_u32 v4, vcc, v0, s52                     // coord0.2: coord0 += d0*sg0*VW + vc0
v_cmp_lt_u32 s[52:53], v4, s[sgprSizeI]            // coord0 < size0
v_cmp_lt_u32 s[56:57], v1, s[sgprSizeJ]            // coord1 < size1
s_and_b64 s[56:57], s[52:53], s[56:57]             // in0 && in1
_v_add_lshl_u32 v58, v3, v4, 0x1                   // scaleToBpe: accumulate d0 lower and *= bpe into Cin addr
v_cndmask_b32 v58, -1, v58, s[56:57]               // LDD clip if OOB. offset
/* (d1,vc1,d0,vc0)=(0,3,0,0) */
_v_add_co_u32 v1, vcc, v1, 1                       // coord1.1: coord1Vgpr += d1*sg1*VW + vc1

/* Fix for UseInitialStridesCD, emitAddressSetupCode */
_v_add_u32 v2, v2, s[sgprStrideC1J]                // ROWINC- Move cinRowPtr to next row
_v_add_u32 v3, v3, s[sgprStrideD1J]                // Move coutRowPtr to next row
v_cmp_lt_u32 s[52:53], v0, s[sgprSizeI]            // coord0 < size0
v_cmp_lt_u32 s[56:57], v1, s[sgprSizeJ]            // coord1 < size1
s_and_b64 s[56:57], s[52:53], s[56:57]             // in0 && in1
_v_add_lshl_u32 v60, v3, v0, 0x1                   // scaleToBpe: accumulate d0 lower and *= bpe into Cin addr
v_cndmask_b32 v60, -1, v60, s[56:57]               // LDD clip if OOB. offset
/* (d1,vc1,d0,vc0)=(0,3,1,0) */
_v_add_co_u32 v4, vcc, v0, 16                      // coord0.1: coord0 += d0*sg0*VW + vc0
v_cmp_lt_u32 s[52:53], v4, s[sgprSizeI]            // coord0 < size0
v_cmp_lt_u32 s[56:57], v1, s[sgprSizeJ]            // coord1 < size1
s_and_b64 s[56:57], s[52:53], s[56:57]             // in0 && in1
_v_add_lshl_u32 v62, v3, v4, 0x1                   // scaleToBpe: accumulate d0 lower and *= bpe into Cin addr
v_cndmask_b32 v62, -1, v62, s[56:57]               // LDD clip if OOB. offset
/* (d1,vc1,d0,vc0)=(0,3,2,0) */
_v_add_co_u32 v4, vcc, v0, 32                      // coord0.1: coord0 += d0*sg0*VW + vc0
v_cmp_lt_u32 s[52:53], v4, s[sgprSizeI]            // coord0 < size0
v_cmp_lt_u32 s[56:57], v1, s[sgprSizeJ]            // coord1 < size1
s_and_b64 s[56:57], s[52:53], s[56:57]             // in0 && in1
_v_add_lshl_u32 v64, v3, v4, 0x1                   // scaleToBpe: accumulate d0 lower and *= bpe into Cin addr
v_cndmask_b32 v64, -1, v64, s[56:57]               // LDD clip if OOB. offset
/* (d1,vc1,d0,vc0)=(0,3,3,0) */
_v_add_co_u32 v4, vcc, v0, 48                      // coord0.1: coord0 += d0*sg0*VW + vc0
v_cmp_lt_u32 s[52:53], v4, s[sgprSizeI]            // coord0 < size0
v_cmp_lt_u32 s[56:57], v1, s[sgprSizeJ]            // coord1 < size1
s_and_b64 s[56:57], s[52:53], s[56:57]             // in0 && in1
_v_add_lshl_u32 v66, v3, v4, 0x1                   // scaleToBpe: accumulate d0 lower and *= bpe into Cin addr
v_cndmask_b32 v66, -1, v66, s[56:57]               // LDD clip if OOB. offset
/* (d1,vc1,d0,vc0)=(0,3,4,0) */
_v_add_co_u32 v4, vcc, v0, 64                      // coord0.1: coord0 += d0*sg0*VW + vc0
v_cmp_lt_u32 s[52:53], v4, s[sgprSizeI]            // coord0 < size0
v_cmp_lt_u32 s[56:57], v1, s[sgprSizeJ]            // coord1 < size1
s_and_b64 s[56:57], s[52:53], s[56:57]             // in0 && in1
_v_add_lshl_u32 v68, v3, v4, 0x1                   // scaleToBpe: accumulate d0 lower and *= bpe into Cin addr
v_cndmask_b32 v68, -1, v68, s[56:57]               // LDD clip if OOB. offset
/* (d1,vc1,d0,vc0)=(0,3,5,0) */
s_mov_b32 s52, 80                                  // coordOffset0 d0=5 vc0=0
_v_add_co_u32 v4, vcc, v0, s52                     // coord0.2: coord0 += d0*sg0*VW + vc0
v_cmp_lt_u32 s[52:53], v4, s[sgprSizeI]            // coord0 < size0
v_cmp_lt_u32 s[56:57], v1, s[sgprSizeJ]            // coord1 < size1
s_and_b64 s[56:57], s[52:53], s[56:57]             // in0 && in1
_v_add_lshl_u32 v70, v3, v4, 0x1                   // scaleToBpe: accumulate d0 lower and *= bpe into Cin addr
v_cndmask_b32 v70, -1, v70, s[56:57]               // LDD clip if OOB. offset
/* (d1,vc1,d0,vc0)=(0,3,6,0) */
s_mov_b32 s52, 96                                  // coordOffset0 d0=6 vc0=0
_v_add_co_u32 v4, vcc, v0, s52                     // coord0.2: coord0 += d0*sg0*VW + vc0
v_cmp_lt_u32 s[52:53], v4, s[sgprSizeI]            // coord0 < size0
v_cmp_lt_u32 s[56:57], v1, s[sgprSizeJ]            // coord1 < size1
s_and_b64 s[56:57], s[52:53], s[56:57]             // in0 && in1
_v_add_lshl_u32 v72, v3, v4, 0x1                   // scaleToBpe: accumulate d0 lower and *= bpe into Cin addr
v_cndmask_b32 v72, -1, v72, s[56:57]               // LDD clip if OOB. offset
/* (d1,vc1,d0,vc0)=(0,3,7,0) */
s_mov_b32 s52, 112                                 // coordOffset0 d0=7 vc0=0
_v_add_co_u32 v4, vcc, v0, s52                     // coord0.2: coord0 += d0*sg0*VW + vc0
v_cmp_lt_u32 s[52:53], v4, s[sgprSizeI]            // coord0 < size0
v_cmp_lt_u32 s[56:57], v1, s[sgprSizeJ]            // coord1 < size1
s_and_b64 s[56:57], s[52:53], s[56:57]             // in0 && in1
_v_add_lshl_u32 v74, v3, v4, 0x1                   // scaleToBpe: accumulate d0 lower and *= bpe into Cin addr
v_cndmask_b32 v74, -1, v74, s[56:57]               // LDD clip if OOB. offset
/* (d1,vc1,d0,vc0)=(0,3,8,0) */
s_mov_b32 s52, 128                                 // coordOffset0 d0=8 vc0=0
_v_add_co_u32 v4, vcc, v0, s52                     // coord0.2: coord0 += d0*sg0*VW + vc0
v_cmp_lt_u32 s[52:53], v4, s[sgprSizeI]            // coord0 < size0
v_cmp_lt_u32 s[56:57], v1, s[sgprSizeJ]            // coord1 < size1
s_and_b64 s[56:57], s[52:53], s[56:57]             // in0 && in1
_v_add_lshl_u32 v76, v3, v4, 0x1                   // scaleToBpe: accumulate d0 lower and *= bpe into Cin addr
v_cndmask_b32 v76, -1, v76, s[56:57]               // LDD clip if OOB. offset
/* (d1,vc1,d0,vc0)=(1,0,0,0) */
_v_add_co_u32 v1, vcc, v1, 61                      // coord1.1: coord1Vgpr += d1*sg1*VW + vc1

/* Fix for UseInitialStridesCD, emitAddressSetupCode */
s_mul_i32 s52, s[sgprStrideC1J], 61                // scale stride
_v_add_u32 v2, v2, s52                             // ROWINC- Move cinRowPtr to next row
s_mul_i32 s52, s[sgprStrideD1J], 61                // scale stride
_v_add_u32 v3, v3, s52                             // Move coutRowPtr to next row
v_cmp_lt_u32 s[52:53], v0, s[sgprSizeI]            // coord0 < size0
v_cmp_lt_u32 s[56:57], v1, s[sgprSizeJ]            // coord1 < size1
s_and_b64 s[56:57], s[52:53], s[56:57]             // in0 && in1
_v_add_lshl_u32 v78, v3, v0, 0x1                   // scaleToBpe: accumulate d0 lower and *= bpe into Cin addr
v_cndmask_b32 v78, -1, v78, s[56:57]               // LDD clip if OOB. offset
/* (d1,vc1,d0,vc0)=(1,0,1,0) */
_v_add_co_u32 v4, vcc, v0, 16                      // coord0.1: coord0 += d0*sg0*VW + vc0
v_cmp_lt_u32 s[52:53], v4, s[sgprSizeI]            // coord0 < size0
v_cmp_lt_u32 s[56:57], v1, s[sgprSizeJ]            // coord1 < size1
s_and_b64 s[56:57], s[52:53], s[56:57]             // in0 && in1
_v_add_lshl_u32 v80, v3, v4, 0x1                   // scaleToBpe: accumulate d0 lower and *= bpe into Cin addr
v_cndmask_b32 v80, -1, v80, s[56:57]               // LDD clip if OOB. offset
/* (d1,vc1,d0,vc0)=(1,0,2,0) */
_v_add_co_u32 v4, vcc, v0, 32                      // coord0.1: coord0 += d0*sg0*VW + vc0
	;; [unrolled: 7-line block ×4, first 2 shown]
v_cmp_lt_u32 s[52:53], v4, s[sgprSizeI]            // coord0 < size0
v_cmp_lt_u32 s[56:57], v1, s[sgprSizeJ]            // coord1 < size1
s_and_b64 s[56:57], s[52:53], s[56:57]             // in0 && in1
_v_add_lshl_u32 v86, v3, v4, 0x1                   // scaleToBpe: accumulate d0 lower and *= bpe into Cin addr
v_cndmask_b32 v86, -1, v86, s[56:57]               // LDD clip if OOB. offset
/* (d1,vc1,d0,vc0)=(1,0,5,0) */
s_mov_b32 s52, 80                                  // coordOffset0 d0=5 vc0=0
_v_add_co_u32 v4, vcc, v0, s52                     // coord0.2: coord0 += d0*sg0*VW + vc0
v_cmp_lt_u32 s[52:53], v4, s[sgprSizeI]            // coord0 < size0
v_cmp_lt_u32 s[56:57], v1, s[sgprSizeJ]            // coord1 < size1
s_and_b64 s[56:57], s[52:53], s[56:57]             // in0 && in1
_v_add_lshl_u32 v88, v3, v4, 0x1                   // scaleToBpe: accumulate d0 lower and *= bpe into Cin addr
v_cndmask_b32 v88, -1, v88, s[56:57]               // LDD clip if OOB. offset
/* (d1,vc1,d0,vc0)=(1,0,6,0) */
s_mov_b32 s52, 96                                  // coordOffset0 d0=6 vc0=0
_v_add_co_u32 v4, vcc, v0, s52                     // coord0.2: coord0 += d0*sg0*VW + vc0
v_cmp_lt_u32 s[52:53], v4, s[sgprSizeI]            // coord0 < size0
v_cmp_lt_u32 s[56:57], v1, s[sgprSizeJ]            // coord1 < size1
s_and_b64 s[56:57], s[52:53], s[56:57]             // in0 && in1
_v_add_lshl_u32 v90, v3, v4, 0x1                   // scaleToBpe: accumulate d0 lower and *= bpe into Cin addr
v_cndmask_b32 v90, -1, v90, s[56:57]               // LDD clip if OOB. offset
/* (d1,vc1,d0,vc0)=(1,0,7,0) */
s_mov_b32 s52, 112                                 // coordOffset0 d0=7 vc0=0
_v_add_co_u32 v4, vcc, v0, s52                     // coord0.2: coord0 += d0*sg0*VW + vc0
v_cmp_lt_u32 s[52:53], v4, s[sgprSizeI]            // coord0 < size0
v_cmp_lt_u32 s[56:57], v1, s[sgprSizeJ]            // coord1 < size1
s_and_b64 s[56:57], s[52:53], s[56:57]             // in0 && in1
_v_add_lshl_u32 v92, v3, v4, 0x1                   // scaleToBpe: accumulate d0 lower and *= bpe into Cin addr
v_cndmask_b32 v92, -1, v92, s[56:57]               // LDD clip if OOB. offset
/* (d1,vc1,d0,vc0)=(1,0,8,0) */
s_mov_b32 s52, 128                                 // coordOffset0 d0=8 vc0=0
_v_add_co_u32 v4, vcc, v0, s52                     // coord0.2: coord0 += d0*sg0*VW + vc0
v_cmp_lt_u32 s[52:53], v4, s[sgprSizeI]            // coord0 < size0
v_cmp_lt_u32 s[56:57], v1, s[sgprSizeJ]            // coord1 < size1
s_and_b64 s[56:57], s[52:53], s[56:57]             // in0 && in1
_v_add_lshl_u32 v97, v3, v4, 0x1                   // scaleToBpe: accumulate d0 lower and *= bpe into Cin addr
v_cndmask_b32 v97, -1, v97, s[56:57]               // LDD clip if OOB. offset
/* (d1,vc1,d0,vc0)=(1,1,0,0) */
_v_add_co_u32 v1, vcc, v1, 1                       // coord1.1: coord1Vgpr += d1*sg1*VW + vc1

/* Fix for UseInitialStridesCD, emitAddressSetupCode */
_v_add_u32 v2, v2, s[sgprStrideC1J]                // ROWINC- Move cinRowPtr to next row
_v_add_u32 v3, v3, s[sgprStrideD1J]                // Move coutRowPtr to next row
v_cmp_lt_u32 s[52:53], v0, s[sgprSizeI]            // coord0 < size0
v_cmp_lt_u32 s[56:57], v1, s[sgprSizeJ]            // coord1 < size1
s_and_b64 s[56:57], s[52:53], s[56:57]             // in0 && in1
_v_add_lshl_u32 v99, v3, v0, 0x1                   // scaleToBpe: accumulate d0 lower and *= bpe into Cin addr
v_cndmask_b32 v99, -1, v99, s[56:57]               // LDD clip if OOB. offset
/* (d1,vc1,d0,vc0)=(1,1,1,0) */
_v_add_co_u32 v4, vcc, v0, 16                      // coord0.1: coord0 += d0*sg0*VW + vc0
v_cmp_lt_u32 s[52:53], v4, s[sgprSizeI]            // coord0 < size0
v_cmp_lt_u32 s[56:57], v1, s[sgprSizeJ]            // coord1 < size1
s_and_b64 s[56:57], s[52:53], s[56:57]             // in0 && in1
_v_add_lshl_u32 v101, v3, v4, 0x1                  // scaleToBpe: accumulate d0 lower and *= bpe into Cin addr
v_cndmask_b32 v101, -1, v101, s[56:57]             // LDD clip if OOB. offset
/* (d1,vc1,d0,vc0)=(1,1,2,0) */
_v_add_co_u32 v4, vcc, v0, 32                      // coord0.1: coord0 += d0*sg0*VW + vc0
v_cmp_lt_u32 s[52:53], v4, s[sgprSizeI]            // coord0 < size0
v_cmp_lt_u32 s[56:57], v1, s[sgprSizeJ]            // coord1 < size1
s_and_b64 s[56:57], s[52:53], s[56:57]             // in0 && in1
_v_add_lshl_u32 v103, v3, v4, 0x1                  // scaleToBpe: accumulate d0 lower and *= bpe into Cin addr
v_cndmask_b32 v103, -1, v103, s[56:57]             // LDD clip if OOB. offset
	;; [unrolled: 7-line block ×4, first 2 shown]
/* (d1,vc1,d0,vc0)=(1,1,5,0) */
s_mov_b32 s52, 80                                  // coordOffset0 d0=5 vc0=0
_v_add_co_u32 v4, vcc, v0, s52                     // coord0.2: coord0 += d0*sg0*VW + vc0
v_cmp_lt_u32 s[52:53], v4, s[sgprSizeI]            // coord0 < size0
v_cmp_lt_u32 s[56:57], v1, s[sgprSizeJ]            // coord1 < size1
s_and_b64 s[56:57], s[52:53], s[56:57]             // in0 && in1
_v_add_lshl_u32 v109, v3, v4, 0x1                  // scaleToBpe: accumulate d0 lower and *= bpe into Cin addr
v_cndmask_b32 v109, -1, v109, s[56:57]             // LDD clip if OOB. offset
/* (d1,vc1,d0,vc0)=(1,1,6,0) */
s_mov_b32 s52, 96                                  // coordOffset0 d0=6 vc0=0
_v_add_co_u32 v4, vcc, v0, s52                     // coord0.2: coord0 += d0*sg0*VW + vc0
v_cmp_lt_u32 s[52:53], v4, s[sgprSizeI]            // coord0 < size0
v_cmp_lt_u32 s[56:57], v1, s[sgprSizeJ]            // coord1 < size1
s_and_b64 s[56:57], s[52:53], s[56:57]             // in0 && in1
_v_add_lshl_u32 v111, v3, v4, 0x1                  // scaleToBpe: accumulate d0 lower and *= bpe into Cin addr
v_cndmask_b32 v111, -1, v111, s[56:57]             // LDD clip if OOB. offset
/* (d1,vc1,d0,vc0)=(1,1,7,0) */
s_mov_b32 s52, 112                                 // coordOffset0 d0=7 vc0=0
_v_add_co_u32 v4, vcc, v0, s52                     // coord0.2: coord0 += d0*sg0*VW + vc0
v_cmp_lt_u32 s[52:53], v4, s[sgprSizeI]            // coord0 < size0
v_cmp_lt_u32 s[56:57], v1, s[sgprSizeJ]            // coord1 < size1
s_and_b64 s[56:57], s[52:53], s[56:57]             // in0 && in1
_v_add_lshl_u32 v113, v3, v4, 0x1                  // scaleToBpe: accumulate d0 lower and *= bpe into Cin addr
v_cndmask_b32 v113, -1, v113, s[56:57]             // LDD clip if OOB. offset
/* (d1,vc1,d0,vc0)=(1,1,8,0) */
s_mov_b32 s52, 128                                 // coordOffset0 d0=8 vc0=0
_v_add_co_u32 v4, vcc, v0, s52                     // coord0.2: coord0 += d0*sg0*VW + vc0
v_cmp_lt_u32 s[52:53], v4, s[sgprSizeI]            // coord0 < size0
v_cmp_lt_u32 s[56:57], v1, s[sgprSizeJ]            // coord1 < size1
s_and_b64 s[56:57], s[52:53], s[56:57]             // in0 && in1
_v_add_lshl_u32 v115, v3, v4, 0x1                  // scaleToBpe: accumulate d0 lower and *= bpe into Cin addr
v_cndmask_b32 v115, -1, v115, s[56:57]             // LDD clip if OOB. offset
/* (d1,vc1,d0,vc0)=(1,2,0,0) */
_v_add_co_u32 v1, vcc, v1, 1                       // coord1.1: coord1Vgpr += d1*sg1*VW + vc1

/* Fix for UseInitialStridesCD, emitAddressSetupCode */
_v_add_u32 v2, v2, s[sgprStrideC1J]                // ROWINC- Move cinRowPtr to next row
_v_add_u32 v3, v3, s[sgprStrideD1J]                // Move coutRowPtr to next row
v_cmp_lt_u32 s[52:53], v0, s[sgprSizeI]            // coord0 < size0
v_cmp_lt_u32 s[56:57], v1, s[sgprSizeJ]            // coord1 < size1
s_and_b64 s[56:57], s[52:53], s[56:57]             // in0 && in1
_v_add_lshl_u32 v117, v3, v0, 0x1                  // scaleToBpe: accumulate d0 lower and *= bpe into Cin addr
v_cndmask_b32 v117, -1, v117, s[56:57]             // LDD clip if OOB. offset
/* (d1,vc1,d0,vc0)=(1,2,1,0) */
_v_add_co_u32 v4, vcc, v0, 16                      // coord0.1: coord0 += d0*sg0*VW + vc0
v_cmp_lt_u32 s[52:53], v4, s[sgprSizeI]            // coord0 < size0
v_cmp_lt_u32 s[56:57], v1, s[sgprSizeJ]            // coord1 < size1
s_and_b64 s[56:57], s[52:53], s[56:57]             // in0 && in1
_v_add_lshl_u32 v119, v3, v4, 0x1                  // scaleToBpe: accumulate d0 lower and *= bpe into Cin addr
v_cndmask_b32 v119, -1, v119, s[56:57]             // LDD clip if OOB. offset
/* (d1,vc1,d0,vc0)=(1,2,2,0) */
_v_add_co_u32 v4, vcc, v0, 32                      // coord0.1: coord0 += d0*sg0*VW + vc0
	;; [unrolled: 7-line block ×4, first 2 shown]
v_cmp_lt_u32 s[52:53], v4, s[sgprSizeI]            // coord0 < size0
v_cmp_lt_u32 s[56:57], v1, s[sgprSizeJ]            // coord1 < size1
s_and_b64 s[56:57], s[52:53], s[56:57]             // in0 && in1
_v_add_lshl_u32 v125, v3, v4, 0x1                  // scaleToBpe: accumulate d0 lower and *= bpe into Cin addr
v_cndmask_b32 v125, -1, v125, s[56:57]             // LDD clip if OOB. offset
/* (d1,vc1,d0,vc0)=(1,2,5,0) */
s_mov_b32 s52, 80                                  // coordOffset0 d0=5 vc0=0
_v_add_co_u32 v4, vcc, v0, s52                     // coord0.2: coord0 += d0*sg0*VW + vc0
v_cmp_lt_u32 s[52:53], v4, s[sgprSizeI]            // coord0 < size0
v_cmp_lt_u32 s[56:57], v1, s[sgprSizeJ]            // coord1 < size1
s_and_b64 s[56:57], s[52:53], s[56:57]             // in0 && in1
_v_add_lshl_u32 v127, v3, v4, 0x1                  // scaleToBpe: accumulate d0 lower and *= bpe into Cin addr
v_cndmask_b32 v127, -1, v127, s[56:57]             // LDD clip if OOB. offset
/* (d1,vc1,d0,vc0)=(1,2,6,0) */
s_mov_b32 s52, 96                                  // coordOffset0 d0=6 vc0=0
_v_add_co_u32 v4, vcc, v0, s52                     // coord0.2: coord0 += d0*sg0*VW + vc0
v_cmp_lt_u32 s[52:53], v4, s[sgprSizeI]            // coord0 < size0
v_cmp_lt_u32 s[56:57], v1, s[sgprSizeJ]            // coord1 < size1
s_and_b64 s[56:57], s[52:53], s[56:57]             // in0 && in1
_v_add_lshl_u32 v129, v3, v4, 0x1                  // scaleToBpe: accumulate d0 lower and *= bpe into Cin addr
v_cndmask_b32 v129, -1, v129, s[56:57]             // LDD clip if OOB. offset
/* (d1,vc1,d0,vc0)=(1,2,7,0) */
s_mov_b32 s52, 112                                 // coordOffset0 d0=7 vc0=0
_v_add_co_u32 v4, vcc, v0, s52                     // coord0.2: coord0 += d0*sg0*VW + vc0
v_cmp_lt_u32 s[52:53], v4, s[sgprSizeI]            // coord0 < size0
v_cmp_lt_u32 s[56:57], v1, s[sgprSizeJ]            // coord1 < size1
s_and_b64 s[56:57], s[52:53], s[56:57]             // in0 && in1
_v_add_lshl_u32 v131, v3, v4, 0x1                  // scaleToBpe: accumulate d0 lower and *= bpe into Cin addr
v_cndmask_b32 v131, -1, v131, s[56:57]             // LDD clip if OOB. offset
/* (d1,vc1,d0,vc0)=(1,2,8,0) */
s_mov_b32 s52, 128                                 // coordOffset0 d0=8 vc0=0
_v_add_co_u32 v4, vcc, v0, s52                     // coord0.2: coord0 += d0*sg0*VW + vc0
v_cmp_lt_u32 s[52:53], v4, s[sgprSizeI]            // coord0 < size0
v_cmp_lt_u32 s[56:57], v1, s[sgprSizeJ]            // coord1 < size1
s_and_b64 s[56:57], s[52:53], s[56:57]             // in0 && in1
_v_add_lshl_u32 v133, v3, v4, 0x1                  // scaleToBpe: accumulate d0 lower and *= bpe into Cin addr
v_cndmask_b32 v133, -1, v133, s[56:57]             // LDD clip if OOB. offset
/* (d1,vc1,d0,vc0)=(1,3,0,0) */
_v_add_co_u32 v1, vcc, v1, 1                       // coord1.1: coord1Vgpr += d1*sg1*VW + vc1

/* Fix for UseInitialStridesCD, emitAddressSetupCode */
_v_add_u32 v2, v2, s[sgprStrideC1J]                // ROWINC- Move cinRowPtr to next row
_v_add_u32 v3, v3, s[sgprStrideD1J]                // Move coutRowPtr to next row
v_cmp_lt_u32 s[52:53], v0, s[sgprSizeI]            // coord0 < size0
v_cmp_lt_u32 s[56:57], v1, s[sgprSizeJ]            // coord1 < size1
s_and_b64 s[56:57], s[52:53], s[56:57]             // in0 && in1
_v_add_lshl_u32 v135, v3, v0, 0x1                  // scaleToBpe: accumulate d0 lower and *= bpe into Cin addr
v_cndmask_b32 v135, -1, v135, s[56:57]             // LDD clip if OOB. offset
/* (d1,vc1,d0,vc0)=(1,3,1,0) */
_v_add_co_u32 v4, vcc, v0, 16                      // coord0.1: coord0 += d0*sg0*VW + vc0
v_cmp_lt_u32 s[52:53], v4, s[sgprSizeI]            // coord0 < size0
v_cmp_lt_u32 s[56:57], v1, s[sgprSizeJ]            // coord1 < size1
s_and_b64 s[56:57], s[52:53], s[56:57]             // in0 && in1
_v_add_lshl_u32 v137, v3, v4, 0x1                  // scaleToBpe: accumulate d0 lower and *= bpe into Cin addr
v_cndmask_b32 v137, -1, v137, s[56:57]             // LDD clip if OOB. offset
/* (d1,vc1,d0,vc0)=(1,3,2,0) */
_v_add_co_u32 v4, vcc, v0, 32                      // coord0.1: coord0 += d0*sg0*VW + vc0
	;; [unrolled: 7-line block ×4, first 2 shown]
v_cmp_lt_u32 s[52:53], v4, s[sgprSizeI]            // coord0 < size0
v_cmp_lt_u32 s[56:57], v1, s[sgprSizeJ]            // coord1 < size1
s_and_b64 s[56:57], s[52:53], s[56:57]             // in0 && in1
_v_add_lshl_u32 v143, v3, v4, 0x1                  // scaleToBpe: accumulate d0 lower and *= bpe into Cin addr
v_cndmask_b32 v143, -1, v143, s[56:57]             // LDD clip if OOB. offset
/* (d1,vc1,d0,vc0)=(1,3,5,0) */
s_mov_b32 s52, 80                                  // coordOffset0 d0=5 vc0=0
_v_add_co_u32 v4, vcc, v0, s52                     // coord0.2: coord0 += d0*sg0*VW + vc0
v_cmp_lt_u32 s[52:53], v4, s[sgprSizeI]            // coord0 < size0
v_cmp_lt_u32 s[56:57], v1, s[sgprSizeJ]            // coord1 < size1
s_and_b64 s[56:57], s[52:53], s[56:57]             // in0 && in1
_v_add_lshl_u32 v145, v3, v4, 0x1                  // scaleToBpe: accumulate d0 lower and *= bpe into Cin addr
v_cndmask_b32 v145, -1, v145, s[56:57]             // LDD clip if OOB. offset
/* (d1,vc1,d0,vc0)=(1,3,6,0) */
s_mov_b32 s52, 96                                  // coordOffset0 d0=6 vc0=0
_v_add_co_u32 v4, vcc, v0, s52                     // coord0.2: coord0 += d0*sg0*VW + vc0
v_cmp_lt_u32 s[52:53], v4, s[sgprSizeI]            // coord0 < size0
v_cmp_lt_u32 s[56:57], v1, s[sgprSizeJ]            // coord1 < size1
s_and_b64 s[56:57], s[52:53], s[56:57]             // in0 && in1
_v_add_lshl_u32 v147, v3, v4, 0x1                  // scaleToBpe: accumulate d0 lower and *= bpe into Cin addr
v_cndmask_b32 v147, -1, v147, s[56:57]             // LDD clip if OOB. offset
/* (d1,vc1,d0,vc0)=(1,3,7,0) */
s_mov_b32 s52, 112                                 // coordOffset0 d0=7 vc0=0
_v_add_co_u32 v4, vcc, v0, s52                     // coord0.2: coord0 += d0*sg0*VW + vc0
v_cmp_lt_u32 s[52:53], v4, s[sgprSizeI]            // coord0 < size0
v_cmp_lt_u32 s[56:57], v1, s[sgprSizeJ]            // coord1 < size1
s_and_b64 s[56:57], s[52:53], s[56:57]             // in0 && in1
_v_add_lshl_u32 v149, v3, v4, 0x1                  // scaleToBpe: accumulate d0 lower and *= bpe into Cin addr
v_cndmask_b32 v149, -1, v149, s[56:57]             // LDD clip if OOB. offset
/* (d1,vc1,d0,vc0)=(1,3,8,0) */
s_mov_b32 s52, 128                                 // coordOffset0 d0=8 vc0=0
_v_add_co_u32 v4, vcc, v0, s52                     // coord0.2: coord0 += d0*sg0*VW + vc0
v_cmp_lt_u32 s[52:53], v4, s[sgprSizeI]            // coord0 < size0
v_cmp_lt_u32 s[56:57], v1, s[sgprSizeJ]            // coord1 < size1
s_and_b64 s[56:57], s[52:53], s[56:57]             // in0 && in1
_v_add_lshl_u32 v151, v3, v4, 0x1                  // scaleToBpe: accumulate d0 lower and *= bpe into Cin addr
v_cndmask_b32 v151, -1, v151, s[56:57]             // LDD clip if OOB. offset
/* (d1,vc1,d0,vc0)=(2,0,0,0) */
_v_add_co_u32 v1, vcc, v1, 61                      // coord1.1: coord1Vgpr += d1*sg1*VW + vc1

/* Fix for UseInitialStridesCD, emitAddressSetupCode */
s_mul_i32 s52, s[sgprStrideC1J], 61                // scale stride
_v_add_u32 v2, v2, s52                             // ROWINC- Move cinRowPtr to next row
s_mul_i32 s52, s[sgprStrideD1J], 61                // scale stride
_v_add_u32 v3, v3, s52                             // Move coutRowPtr to next row
v_cmp_lt_u32 s[52:53], v0, s[sgprSizeI]            // coord0 < size0
v_cmp_lt_u32 s[56:57], v1, s[sgprSizeJ]            // coord1 < size1
s_and_b64 s[56:57], s[52:53], s[56:57]             // in0 && in1
_v_add_lshl_u32 v153, v3, v0, 0x1                  // scaleToBpe: accumulate d0 lower and *= bpe into Cin addr
v_cndmask_b32 v153, -1, v153, s[56:57]             // LDD clip if OOB. offset
/* (d1,vc1,d0,vc0)=(2,0,1,0) */
_v_add_co_u32 v4, vcc, v0, 16                      // coord0.1: coord0 += d0*sg0*VW + vc0
v_cmp_lt_u32 s[52:53], v4, s[sgprSizeI]            // coord0 < size0
v_cmp_lt_u32 s[56:57], v1, s[sgprSizeJ]            // coord1 < size1
s_and_b64 s[56:57], s[52:53], s[56:57]             // in0 && in1
_v_add_lshl_u32 v155, v3, v4, 0x1                  // scaleToBpe: accumulate d0 lower and *= bpe into Cin addr
v_cndmask_b32 v155, -1, v155, s[56:57]             // LDD clip if OOB. offset
/* (d1,vc1,d0,vc0)=(2,0,2,0) */
_v_add_co_u32 v4, vcc, v0, 32                      // coord0.1: coord0 += d0*sg0*VW + vc0
	;; [unrolled: 7-line block ×4, first 2 shown]
v_cmp_lt_u32 s[52:53], v4, s[sgprSizeI]            // coord0 < size0
v_cmp_lt_u32 s[56:57], v1, s[sgprSizeJ]            // coord1 < size1
s_and_b64 s[56:57], s[52:53], s[56:57]             // in0 && in1
_v_add_lshl_u32 v161, v3, v4, 0x1                  // scaleToBpe: accumulate d0 lower and *= bpe into Cin addr
v_cndmask_b32 v161, -1, v161, s[56:57]             // LDD clip if OOB. offset
/* (d1,vc1,d0,vc0)=(2,0,5,0) */
s_mov_b32 s52, 80                                  // coordOffset0 d0=5 vc0=0
_v_add_co_u32 v4, vcc, v0, s52                     // coord0.2: coord0 += d0*sg0*VW + vc0
v_cmp_lt_u32 s[52:53], v4, s[sgprSizeI]            // coord0 < size0
v_cmp_lt_u32 s[56:57], v1, s[sgprSizeJ]            // coord1 < size1
s_and_b64 s[56:57], s[52:53], s[56:57]             // in0 && in1
_v_add_lshl_u32 v163, v3, v4, 0x1                  // scaleToBpe: accumulate d0 lower and *= bpe into Cin addr
v_cndmask_b32 v163, -1, v163, s[56:57]             // LDD clip if OOB. offset
/* (d1,vc1,d0,vc0)=(2,0,6,0) */
s_mov_b32 s52, 96                                  // coordOffset0 d0=6 vc0=0
_v_add_co_u32 v4, vcc, v0, s52                     // coord0.2: coord0 += d0*sg0*VW + vc0
v_cmp_lt_u32 s[52:53], v4, s[sgprSizeI]            // coord0 < size0
v_cmp_lt_u32 s[56:57], v1, s[sgprSizeJ]            // coord1 < size1
s_and_b64 s[56:57], s[52:53], s[56:57]             // in0 && in1
_v_add_lshl_u32 v165, v3, v4, 0x1                  // scaleToBpe: accumulate d0 lower and *= bpe into Cin addr
v_cndmask_b32 v165, -1, v165, s[56:57]             // LDD clip if OOB. offset
/* (d1,vc1,d0,vc0)=(2,0,7,0) */
s_mov_b32 s52, 112                                 // coordOffset0 d0=7 vc0=0
_v_add_co_u32 v4, vcc, v0, s52                     // coord0.2: coord0 += d0*sg0*VW + vc0
v_cmp_lt_u32 s[52:53], v4, s[sgprSizeI]            // coord0 < size0
v_cmp_lt_u32 s[56:57], v1, s[sgprSizeJ]            // coord1 < size1
s_and_b64 s[56:57], s[52:53], s[56:57]             // in0 && in1
_v_add_lshl_u32 v167, v3, v4, 0x1                  // scaleToBpe: accumulate d0 lower and *= bpe into Cin addr
v_cndmask_b32 v167, -1, v167, s[56:57]             // LDD clip if OOB. offset
/* (d1,vc1,d0,vc0)=(2,0,8,0) */
s_mov_b32 s52, 128                                 // coordOffset0 d0=8 vc0=0
_v_add_co_u32 v4, vcc, v0, s52                     // coord0.2: coord0 += d0*sg0*VW + vc0
v_cmp_lt_u32 s[52:53], v4, s[sgprSizeI]            // coord0 < size0
v_cmp_lt_u32 s[56:57], v1, s[sgprSizeJ]            // coord1 < size1
s_and_b64 s[56:57], s[52:53], s[56:57]             // in0 && in1
_v_add_lshl_u32 v169, v3, v4, 0x1                  // scaleToBpe: accumulate d0 lower and *= bpe into Cin addr
v_cndmask_b32 v169, -1, v169, s[56:57]             // LDD clip if OOB. offset
/* (d1,vc1,d0,vc0)=(2,1,0,0) */
_v_add_co_u32 v1, vcc, v1, 1                       // coord1.1: coord1Vgpr += d1*sg1*VW + vc1

/* Fix for UseInitialStridesCD, emitAddressSetupCode */
_v_add_u32 v2, v2, s[sgprStrideC1J]                // ROWINC- Move cinRowPtr to next row
_v_add_u32 v3, v3, s[sgprStrideD1J]                // Move coutRowPtr to next row
v_cmp_lt_u32 s[52:53], v0, s[sgprSizeI]            // coord0 < size0
v_cmp_lt_u32 s[56:57], v1, s[sgprSizeJ]            // coord1 < size1
s_and_b64 s[56:57], s[52:53], s[56:57]             // in0 && in1
_v_add_lshl_u32 v171, v3, v0, 0x1                  // scaleToBpe: accumulate d0 lower and *= bpe into Cin addr
v_cndmask_b32 v171, -1, v171, s[56:57]             // LDD clip if OOB. offset
/* (d1,vc1,d0,vc0)=(2,1,1,0) */
_v_add_co_u32 v4, vcc, v0, 16                      // coord0.1: coord0 += d0*sg0*VW + vc0
v_cmp_lt_u32 s[52:53], v4, s[sgprSizeI]            // coord0 < size0
v_cmp_lt_u32 s[56:57], v1, s[sgprSizeJ]            // coord1 < size1
s_and_b64 s[56:57], s[52:53], s[56:57]             // in0 && in1
_v_add_lshl_u32 v173, v3, v4, 0x1                  // scaleToBpe: accumulate d0 lower and *= bpe into Cin addr
v_cndmask_b32 v173, -1, v173, s[56:57]             // LDD clip if OOB. offset
/* (d1,vc1,d0,vc0)=(2,1,2,0) */
_v_add_co_u32 v4, vcc, v0, 32                      // coord0.1: coord0 += d0*sg0*VW + vc0
	;; [unrolled: 7-line block ×4, first 2 shown]
v_cmp_lt_u32 s[52:53], v4, s[sgprSizeI]            // coord0 < size0
v_cmp_lt_u32 s[56:57], v1, s[sgprSizeJ]            // coord1 < size1
s_and_b64 s[56:57], s[52:53], s[56:57]             // in0 && in1
_v_add_lshl_u32 v179, v3, v4, 0x1                  // scaleToBpe: accumulate d0 lower and *= bpe into Cin addr
v_cndmask_b32 v179, -1, v179, s[56:57]             // LDD clip if OOB. offset
/* (d1,vc1,d0,vc0)=(2,1,5,0) */
s_mov_b32 s52, 80                                  // coordOffset0 d0=5 vc0=0
_v_add_co_u32 v4, vcc, v0, s52                     // coord0.2: coord0 += d0*sg0*VW + vc0
v_cmp_lt_u32 s[52:53], v4, s[sgprSizeI]            // coord0 < size0
v_cmp_lt_u32 s[56:57], v1, s[sgprSizeJ]            // coord1 < size1
s_and_b64 s[56:57], s[52:53], s[56:57]             // in0 && in1
_v_add_lshl_u32 v181, v3, v4, 0x1                  // scaleToBpe: accumulate d0 lower and *= bpe into Cin addr
v_cndmask_b32 v181, -1, v181, s[56:57]             // LDD clip if OOB. offset
/* (d1,vc1,d0,vc0)=(2,1,6,0) */
s_mov_b32 s52, 96                                  // coordOffset0 d0=6 vc0=0
_v_add_co_u32 v4, vcc, v0, s52                     // coord0.2: coord0 += d0*sg0*VW + vc0
v_cmp_lt_u32 s[52:53], v4, s[sgprSizeI]            // coord0 < size0
v_cmp_lt_u32 s[56:57], v1, s[sgprSizeJ]            // coord1 < size1
s_and_b64 s[56:57], s[52:53], s[56:57]             // in0 && in1
_v_add_lshl_u32 v183, v3, v4, 0x1                  // scaleToBpe: accumulate d0 lower and *= bpe into Cin addr
v_cndmask_b32 v183, -1, v183, s[56:57]             // LDD clip if OOB. offset
/* (d1,vc1,d0,vc0)=(2,1,7,0) */
s_mov_b32 s52, 112                                 // coordOffset0 d0=7 vc0=0
_v_add_co_u32 v4, vcc, v0, s52                     // coord0.2: coord0 += d0*sg0*VW + vc0
v_cmp_lt_u32 s[52:53], v4, s[sgprSizeI]            // coord0 < size0
v_cmp_lt_u32 s[56:57], v1, s[sgprSizeJ]            // coord1 < size1
s_and_b64 s[56:57], s[52:53], s[56:57]             // in0 && in1
_v_add_lshl_u32 v185, v3, v4, 0x1                  // scaleToBpe: accumulate d0 lower and *= bpe into Cin addr
v_cndmask_b32 v185, -1, v185, s[56:57]             // LDD clip if OOB. offset
/* (d1,vc1,d0,vc0)=(2,1,8,0) */
s_mov_b32 s52, 128                                 // coordOffset0 d0=8 vc0=0
_v_add_co_u32 v4, vcc, v0, s52                     // coord0.2: coord0 += d0*sg0*VW + vc0
v_cmp_lt_u32 s[52:53], v4, s[sgprSizeI]            // coord0 < size0
v_cmp_lt_u32 s[56:57], v1, s[sgprSizeJ]            // coord1 < size1
s_and_b64 s[56:57], s[52:53], s[56:57]             // in0 && in1
_v_add_lshl_u32 v187, v3, v4, 0x1                  // scaleToBpe: accumulate d0 lower and *= bpe into Cin addr
v_cndmask_b32 v187, -1, v187, s[56:57]             // LDD clip if OOB. offset
/* (d1,vc1,d0,vc0)=(2,2,0,0) */
_v_add_co_u32 v1, vcc, v1, 1                       // coord1.1: coord1Vgpr += d1*sg1*VW + vc1

/* Fix for UseInitialStridesCD, emitAddressSetupCode */
_v_add_u32 v2, v2, s[sgprStrideC1J]                // ROWINC- Move cinRowPtr to next row
_v_add_u32 v3, v3, s[sgprStrideD1J]                // Move coutRowPtr to next row
v_cmp_lt_u32 s[52:53], v0, s[sgprSizeI]            // coord0 < size0
v_cmp_lt_u32 s[56:57], v1, s[sgprSizeJ]            // coord1 < size1
s_and_b64 s[56:57], s[52:53], s[56:57]             // in0 && in1
_v_add_lshl_u32 v189, v3, v0, 0x1                  // scaleToBpe: accumulate d0 lower and *= bpe into Cin addr
v_cndmask_b32 v189, -1, v189, s[56:57]             // LDD clip if OOB. offset
/* (d1,vc1,d0,vc0)=(2,2,1,0) */
_v_add_co_u32 v4, vcc, v0, 16                      // coord0.1: coord0 += d0*sg0*VW + vc0
v_cmp_lt_u32 s[52:53], v4, s[sgprSizeI]            // coord0 < size0
v_cmp_lt_u32 s[56:57], v1, s[sgprSizeJ]            // coord1 < size1
s_and_b64 s[56:57], s[52:53], s[56:57]             // in0 && in1
_v_add_lshl_u32 v191, v3, v4, 0x1                  // scaleToBpe: accumulate d0 lower and *= bpe into Cin addr
v_cndmask_b32 v191, -1, v191, s[56:57]             // LDD clip if OOB. offset
/* (d1,vc1,d0,vc0)=(2,2,2,0) */
_v_add_co_u32 v4, vcc, v0, 32                      // coord0.1: coord0 += d0*sg0*VW + vc0
	;; [unrolled: 7-line block ×4, first 2 shown]
v_cmp_lt_u32 s[52:53], v4, s[sgprSizeI]            // coord0 < size0
v_cmp_lt_u32 s[56:57], v1, s[sgprSizeJ]            // coord1 < size1
s_and_b64 s[56:57], s[52:53], s[56:57]             // in0 && in1
_v_add_lshl_u32 v197, v3, v4, 0x1                  // scaleToBpe: accumulate d0 lower and *= bpe into Cin addr
v_cndmask_b32 v197, -1, v197, s[56:57]             // LDD clip if OOB. offset
/* (d1,vc1,d0,vc0)=(2,2,5,0) */
s_mov_b32 s52, 80                                  // coordOffset0 d0=5 vc0=0
_v_add_co_u32 v4, vcc, v0, s52                     // coord0.2: coord0 += d0*sg0*VW + vc0
v_cmp_lt_u32 s[52:53], v4, s[sgprSizeI]            // coord0 < size0
v_cmp_lt_u32 s[56:57], v1, s[sgprSizeJ]            // coord1 < size1
s_and_b64 s[56:57], s[52:53], s[56:57]             // in0 && in1
_v_add_lshl_u32 v199, v3, v4, 0x1                  // scaleToBpe: accumulate d0 lower and *= bpe into Cin addr
v_cndmask_b32 v199, -1, v199, s[56:57]             // LDD clip if OOB. offset
/* (d1,vc1,d0,vc0)=(2,2,6,0) */
s_mov_b32 s52, 96                                  // coordOffset0 d0=6 vc0=0
_v_add_co_u32 v4, vcc, v0, s52                     // coord0.2: coord0 += d0*sg0*VW + vc0
v_cmp_lt_u32 s[52:53], v4, s[sgprSizeI]            // coord0 < size0
v_cmp_lt_u32 s[56:57], v1, s[sgprSizeJ]            // coord1 < size1
s_and_b64 s[56:57], s[52:53], s[56:57]             // in0 && in1
_v_add_lshl_u32 v201, v3, v4, 0x1                  // scaleToBpe: accumulate d0 lower and *= bpe into Cin addr
v_cndmask_b32 v201, -1, v201, s[56:57]             // LDD clip if OOB. offset
/* (d1,vc1,d0,vc0)=(2,2,7,0) */
s_mov_b32 s52, 112                                 // coordOffset0 d0=7 vc0=0
_v_add_co_u32 v4, vcc, v0, s52                     // coord0.2: coord0 += d0*sg0*VW + vc0
v_cmp_lt_u32 s[52:53], v4, s[sgprSizeI]            // coord0 < size0
v_cmp_lt_u32 s[56:57], v1, s[sgprSizeJ]            // coord1 < size1
s_and_b64 s[56:57], s[52:53], s[56:57]             // in0 && in1
_v_add_lshl_u32 v203, v3, v4, 0x1                  // scaleToBpe: accumulate d0 lower and *= bpe into Cin addr
v_cndmask_b32 v203, -1, v203, s[56:57]             // LDD clip if OOB. offset
/* (d1,vc1,d0,vc0)=(2,2,8,0) */
s_mov_b32 s52, 128                                 // coordOffset0 d0=8 vc0=0
_v_add_co_u32 v4, vcc, v0, s52                     // coord0.2: coord0 += d0*sg0*VW + vc0
v_cmp_lt_u32 s[52:53], v4, s[sgprSizeI]            // coord0 < size0
v_cmp_lt_u32 s[56:57], v1, s[sgprSizeJ]            // coord1 < size1
s_and_b64 s[56:57], s[52:53], s[56:57]             // in0 && in1
_v_add_lshl_u32 v205, v3, v4, 0x1                  // scaleToBpe: accumulate d0 lower and *= bpe into Cin addr
v_cndmask_b32 v205, -1, v205, s[56:57]             // LDD clip if OOB. offset
/* (d1,vc1,d0,vc0)=(2,3,0,0) */
_v_add_co_u32 v1, vcc, v1, 1                       // coord1.1: coord1Vgpr += d1*sg1*VW + vc1

/* Fix for UseInitialStridesCD, emitAddressSetupCode */
_v_add_u32 v2, v2, s[sgprStrideC1J]                // ROWINC- Move cinRowPtr to next row
_v_add_u32 v3, v3, s[sgprStrideD1J]                // Move coutRowPtr to next row
v_cmp_lt_u32 s[52:53], v0, s[sgprSizeI]            // coord0 < size0
v_cmp_lt_u32 s[56:57], v1, s[sgprSizeJ]            // coord1 < size1
s_and_b64 s[56:57], s[52:53], s[56:57]             // in0 && in1
_v_add_lshl_u32 v207, v3, v0, 0x1                  // scaleToBpe: accumulate d0 lower and *= bpe into Cin addr
v_cndmask_b32 v207, -1, v207, s[56:57]             // LDD clip if OOB. offset
/* (d1,vc1,d0,vc0)=(2,3,1,0) */
_v_add_co_u32 v4, vcc, v0, 16                      // coord0.1: coord0 += d0*sg0*VW + vc0
v_cmp_lt_u32 s[52:53], v4, s[sgprSizeI]            // coord0 < size0
v_cmp_lt_u32 s[56:57], v1, s[sgprSizeJ]            // coord1 < size1
s_and_b64 s[56:57], s[52:53], s[56:57]             // in0 && in1
_v_add_lshl_u32 v209, v3, v4, 0x1                  // scaleToBpe: accumulate d0 lower and *= bpe into Cin addr
v_cndmask_b32 v209, -1, v209, s[56:57]             // LDD clip if OOB. offset
/* (d1,vc1,d0,vc0)=(2,3,2,0) */
_v_add_co_u32 v4, vcc, v0, 32                      // coord0.1: coord0 += d0*sg0*VW + vc0
	;; [unrolled: 7-line block ×4, first 2 shown]
v_cmp_lt_u32 s[52:53], v4, s[sgprSizeI]            // coord0 < size0
v_cmp_lt_u32 s[56:57], v1, s[sgprSizeJ]            // coord1 < size1
s_and_b64 s[56:57], s[52:53], s[56:57]             // in0 && in1
_v_add_lshl_u32 v215, v3, v4, 0x1                  // scaleToBpe: accumulate d0 lower and *= bpe into Cin addr
v_cndmask_b32 v215, -1, v215, s[56:57]             // LDD clip if OOB. offset
/* (d1,vc1,d0,vc0)=(2,3,5,0) */
s_mov_b32 s52, 80                                  // coordOffset0 d0=5 vc0=0
_v_add_co_u32 v4, vcc, v0, s52                     // coord0.2: coord0 += d0*sg0*VW + vc0
v_cmp_lt_u32 s[52:53], v4, s[sgprSizeI]            // coord0 < size0
v_cmp_lt_u32 s[56:57], v1, s[sgprSizeJ]            // coord1 < size1
s_and_b64 s[56:57], s[52:53], s[56:57]             // in0 && in1
_v_add_lshl_u32 v217, v3, v4, 0x1                  // scaleToBpe: accumulate d0 lower and *= bpe into Cin addr
v_cndmask_b32 v217, -1, v217, s[56:57]             // LDD clip if OOB. offset
/* (d1,vc1,d0,vc0)=(2,3,6,0) */
s_mov_b32 s52, 96                                  // coordOffset0 d0=6 vc0=0
_v_add_co_u32 v4, vcc, v0, s52                     // coord0.2: coord0 += d0*sg0*VW + vc0
v_cmp_lt_u32 s[52:53], v4, s[sgprSizeI]            // coord0 < size0
v_cmp_lt_u32 s[56:57], v1, s[sgprSizeJ]            // coord1 < size1
s_and_b64 s[56:57], s[52:53], s[56:57]             // in0 && in1
_v_add_lshl_u32 v219, v3, v4, 0x1                  // scaleToBpe: accumulate d0 lower and *= bpe into Cin addr
v_cndmask_b32 v219, -1, v219, s[56:57]             // LDD clip if OOB. offset
/* (d1,vc1,d0,vc0)=(2,3,7,0) */
s_mov_b32 s52, 112                                 // coordOffset0 d0=7 vc0=0
_v_add_co_u32 v4, vcc, v0, s52                     // coord0.2: coord0 += d0*sg0*VW + vc0
v_cmp_lt_u32 s[52:53], v4, s[sgprSizeI]            // coord0 < size0
v_cmp_lt_u32 s[56:57], v1, s[sgprSizeJ]            // coord1 < size1
s_and_b64 s[56:57], s[52:53], s[56:57]             // in0 && in1
_v_add_lshl_u32 v221, v3, v4, 0x1                  // scaleToBpe: accumulate d0 lower and *= bpe into Cin addr
v_cndmask_b32 v221, -1, v221, s[56:57]             // LDD clip if OOB. offset
/* (d1,vc1,d0,vc0)=(2,3,8,0) */
s_mov_b32 s52, 128                                 // coordOffset0 d0=8 vc0=0
_v_add_co_u32 v4, vcc, v0, s52                     // coord0.2: coord0 += d0*sg0*VW + vc0
v_cmp_lt_u32 s[52:53], v4, s[sgprSizeI]            // coord0 < size0
v_cmp_lt_u32 s[56:57], v1, s[sgprSizeJ]            // coord1 < size1
s_and_b64 s[56:57], s[52:53], s[56:57]             // in0 && in1
_v_add_lshl_u32 v223, v3, v4, 0x1                  // scaleToBpe: accumulate d0 lower and *= bpe into Cin addr
v_cndmask_b32 v223, -1, v223, s[56:57]             // LDD clip if OOB. offset
v_accvgpr_read_b32 v[vgprValuC+7], acc0 // copy acc to vreg[0]
v_accvgpr_read_b32 v[vgprValuC+9], acc4 // copy acc to vreg[1]
v_accvgpr_read_b32 v[vgprValuC+11], acc8 // copy acc to vreg[2]
v_accvgpr_read_b32 v[vgprValuC+13], acc12 // copy acc to vreg[3]
v_accvgpr_read_b32 v[vgprValuC+15], acc16 // copy acc to vreg[4]
v_accvgpr_read_b32 v[vgprValuC+17], acc20 // copy acc to vreg[5]
v_accvgpr_read_b32 v[vgprValuC+19], acc24 // copy acc to vreg[6]
v_accvgpr_read_b32 v[vgprValuC+21], acc28 // copy acc to vreg[7]
v_accvgpr_read_b32 v[vgprValuC+23], acc32 // copy acc to vreg[8]
v_accvgpr_read_b32 v[vgprValuC+25], acc1 // copy acc to vreg[9]
v_accvgpr_read_b32 v[vgprValuC+27], acc5 // copy acc to vreg[10]
v_accvgpr_read_b32 v[vgprValuC+29], acc9 // copy acc to vreg[11]
v_accvgpr_read_b32 v[vgprValuC+31], acc13 // copy acc to vreg[12]
v_accvgpr_read_b32 v[vgprValuC+33], acc17 // copy acc to vreg[13]
v_accvgpr_read_b32 v[vgprValuC+35], acc21 // copy acc to vreg[14]
v_accvgpr_read_b32 v[vgprValuC+37], acc25 // copy acc to vreg[15]
v_accvgpr_read_b32 v[vgprValuC+39], acc29 // copy acc to vreg[16]
v_accvgpr_read_b32 v[vgprValuC+41], acc33 // copy acc to vreg[17]
v_accvgpr_read_b32 v[vgprValuC+43], acc2 // copy acc to vreg[18]
v_accvgpr_read_b32 v[vgprValuC+45], acc6 // copy acc to vreg[19]
v_accvgpr_read_b32 v[vgprValuC+47], acc10 // copy acc to vreg[20]
v_accvgpr_read_b32 v[vgprValuC+49], acc14 // copy acc to vreg[21]
v_accvgpr_read_b32 v[vgprValuC+51], acc18 // copy acc to vreg[22]
v_accvgpr_read_b32 v[vgprValuC+53], acc22 // copy acc to vreg[23]
v_accvgpr_read_b32 v[vgprValuC+55], acc26 // copy acc to vreg[24]
v_accvgpr_read_b32 v[vgprValuC+57], acc30 // copy acc to vreg[25]
v_accvgpr_read_b32 v[vgprValuC+59], acc34 // copy acc to vreg[26]
v_accvgpr_read_b32 v[vgprValuC+61], acc3 // copy acc to vreg[27]
v_accvgpr_read_b32 v[vgprValuC+63], acc7 // copy acc to vreg[28]
v_accvgpr_read_b32 v[vgprValuC+65], acc11 // copy acc to vreg[29]
v_accvgpr_read_b32 v[vgprValuC+67], acc15 // copy acc to vreg[30]
v_accvgpr_read_b32 v[vgprValuC+69], acc19 // copy acc to vreg[31]
v_accvgpr_read_b32 v[vgprValuC+71], acc23 // copy acc to vreg[32]
v_accvgpr_read_b32 v[vgprValuC+73], acc27 // copy acc to vreg[33]
v_accvgpr_read_b32 v[vgprValuC+75], acc31 // copy acc to vreg[34]
v_accvgpr_read_b32 v[vgprValuC+77], acc35 // copy acc to vreg[35]
v_accvgpr_read_b32 v[vgprValuC+79], acc36 // copy acc to vreg[36]
v_accvgpr_read_b32 v[vgprValuC+81], acc40 // copy acc to vreg[37]
v_accvgpr_read_b32 v[vgprValuC+83], acc44 // copy acc to vreg[38]
v_accvgpr_read_b32 v[vgprValuC+85], acc48 // copy acc to vreg[39]
v_accvgpr_read_b32 v[vgprValuC+87], acc52 // copy acc to vreg[40]
v_accvgpr_read_b32 v[vgprValuC+89], acc56 // copy acc to vreg[41]
v_accvgpr_read_b32 v[vgprValuC+91], acc60 // copy acc to vreg[42]
v_accvgpr_read_b32 v[vgprValuC+93], acc64 // copy acc to vreg[43]
v_accvgpr_read_b32 v[vgprValuC+98], acc68 // copy acc to vreg[44]
v_accvgpr_read_b32 v[vgprValuC+100], acc37 // copy acc to vreg[45]
v_accvgpr_read_b32 v[vgprValuC+102], acc41 // copy acc to vreg[46]
v_accvgpr_read_b32 v[vgprValuC+104], acc45 // copy acc to vreg[47]
v_accvgpr_read_b32 v[vgprValuC+106], acc49 // copy acc to vreg[48]
v_accvgpr_read_b32 v[vgprValuC+108], acc53 // copy acc to vreg[49]
v_accvgpr_read_b32 v[vgprValuC+110], acc57 // copy acc to vreg[50]
v_accvgpr_read_b32 v[vgprValuC+112], acc61 // copy acc to vreg[51]
v_accvgpr_read_b32 v[vgprValuC+114], acc65 // copy acc to vreg[52]
v_accvgpr_read_b32 v[vgprValuC+116], acc69 // copy acc to vreg[53]
v_accvgpr_read_b32 v[vgprValuC+118], acc38 // copy acc to vreg[54]
v_accvgpr_read_b32 v[vgprValuC+120], acc42 // copy acc to vreg[55]
v_accvgpr_read_b32 v[vgprValuC+122], acc46 // copy acc to vreg[56]
v_accvgpr_read_b32 v[vgprValuC+124], acc50 // copy acc to vreg[57]
v_accvgpr_read_b32 v[vgprValuC+126], acc54 // copy acc to vreg[58]
v_accvgpr_read_b32 v[vgprValuC+128], acc58 // copy acc to vreg[59]
v_accvgpr_read_b32 v[vgprValuC+130], acc62 // copy acc to vreg[60]
v_accvgpr_read_b32 v[vgprValuC+132], acc66 // copy acc to vreg[61]
v_accvgpr_read_b32 v[vgprValuC+134], acc70 // copy acc to vreg[62]
v_accvgpr_read_b32 v[vgprValuC+136], acc39 // copy acc to vreg[63]
v_accvgpr_read_b32 v[vgprValuC+138], acc43 // copy acc to vreg[64]
v_accvgpr_read_b32 v[vgprValuC+140], acc47 // copy acc to vreg[65]
v_accvgpr_read_b32 v[vgprValuC+142], acc51 // copy acc to vreg[66]
v_accvgpr_read_b32 v[vgprValuC+144], acc55 // copy acc to vreg[67]
v_accvgpr_read_b32 v[vgprValuC+146], acc59 // copy acc to vreg[68]
v_accvgpr_read_b32 v[vgprValuC+148], acc63 // copy acc to vreg[69]
v_accvgpr_read_b32 v[vgprValuC+150], acc67 // copy acc to vreg[70]
v_accvgpr_read_b32 v[vgprValuC+152], acc71 // copy acc to vreg[71]
v_accvgpr_read_b32 v[vgprValuC+154], acc72 // copy acc to vreg[72]
v_accvgpr_read_b32 v[vgprValuC+156], acc76 // copy acc to vreg[73]
v_accvgpr_read_b32 v[vgprValuC+158], acc80 // copy acc to vreg[74]
v_accvgpr_read_b32 v[vgprValuC+160], acc84 // copy acc to vreg[75]
v_accvgpr_read_b32 v[vgprValuC+162], acc88 // copy acc to vreg[76]
v_accvgpr_read_b32 v[vgprValuC+164], acc92 // copy acc to vreg[77]
v_accvgpr_read_b32 v[vgprValuC+166], acc96 // copy acc to vreg[78]
v_accvgpr_read_b32 v[vgprValuC+168], acc100 // copy acc to vreg[79]
v_accvgpr_read_b32 v[vgprValuC+170], acc104 // copy acc to vreg[80]
v_accvgpr_read_b32 v[vgprValuC+172], acc73 // copy acc to vreg[81]
v_accvgpr_read_b32 v[vgprValuC+174], acc77 // copy acc to vreg[82]
v_accvgpr_read_b32 v[vgprValuC+176], acc81 // copy acc to vreg[83]
v_accvgpr_read_b32 v[vgprValuC+178], acc85 // copy acc to vreg[84]
v_accvgpr_read_b32 v[vgprValuC+180], acc89 // copy acc to vreg[85]
v_accvgpr_read_b32 v[vgprValuC+182], acc93 // copy acc to vreg[86]
v_accvgpr_read_b32 v[vgprValuC+184], acc97 // copy acc to vreg[87]
v_accvgpr_read_b32 v[vgprValuC+186], acc101 // copy acc to vreg[88]
v_accvgpr_read_b32 v[vgprValuC+188], acc105 // copy acc to vreg[89]
v_accvgpr_read_b32 v[vgprValuC+190], acc74 // copy acc to vreg[90]
v_accvgpr_read_b32 v[vgprValuC+192], acc78 // copy acc to vreg[91]
v_accvgpr_read_b32 v[vgprValuC+194], acc82 // copy acc to vreg[92]
v_accvgpr_read_b32 v[vgprValuC+196], acc86 // copy acc to vreg[93]
v_accvgpr_read_b32 v[vgprValuC+198], acc90 // copy acc to vreg[94]
v_accvgpr_read_b32 v[vgprValuC+200], acc94 // copy acc to vreg[95]
v_accvgpr_read_b32 v[vgprValuC+202], acc98 // copy acc to vreg[96]
v_accvgpr_read_b32 v[vgprValuC+204], acc102 // copy acc to vreg[97]
v_accvgpr_read_b32 v[vgprValuC+206], acc106 // copy acc to vreg[98]
v_accvgpr_read_b32 v[vgprValuC+208], acc75 // copy acc to vreg[99]
v_accvgpr_read_b32 v[vgprValuC+210], acc79 // copy acc to vreg[100]
v_accvgpr_read_b32 v[vgprValuC+212], acc83 // copy acc to vreg[101]
v_accvgpr_read_b32 v[vgprValuC+214], acc87 // copy acc to vreg[102]
v_accvgpr_read_b32 v[vgprValuC+216], acc91 // copy acc to vreg[103]
v_accvgpr_read_b32 v[vgprValuC+218], acc95 // copy acc to vreg[104]
v_accvgpr_read_b32 v[vgprValuC+220], acc99 // copy acc to vreg[105]
v_accvgpr_read_b32 v[vgprValuC+222], acc103 // copy acc to vreg[106]
v_accvgpr_read_b32 v[vgprValuC+224], acc107 // copy acc to vreg[107]
s_nop 1                                            // 2 wait states required before reading vgpr

/* rC *= alpha batchElements=[(0, 0, 0, 0), (0, 1, 0, 0), (0, 2, 0, 0), (0, 3, 0, 0), (0, 4, 0, 0), (0, 5, 0, 0), (0, 6, 0, 0), (0, 7, 0, 0), (0, 8, 0, 0), (0, 0, 1, 0), (0, 1, 1, 0), (0, 2, 1, 0), (0, 3, 1, 0), (0, 4, 1, 0), (0, 5, 1, 0), (0, 6, 1, 0), (0, 7, 1, 0), (0, 8, 1, 0), (0, 0, 2, 0), (0, 1, 2, 0), (0, 2, 2, 0), (0, 3, 2, 0), (0, 4, 2, 0), (0, 5, 2, 0), (0, 6, 2, 0), (0, 7, 2, 0), (0, 8, 2, 0), (0, 0, 3, 0), (0, 1, 3, 0), (0, 2, 3, 0), (0, 3, 3, 0), (0, 4, 3, 0), (0, 5, 3, 0), (0, 6, 3, 0), (0, 7, 3, 0), (0, 8, 3, 0), (1, 0, 0, 0), (1, 1, 0, 0), (1, 2, 0, 0), (1, 3, 0, 0), (1, 4, 0, 0), (1, 5, 0, 0), (1, 6, 0, 0), (1, 7, 0, 0), (1, 8, 0, 0), (1, 0, 1, 0), (1, 1, 1, 0), (1, 2, 1, 0), (1, 3, 1, 0), (1, 4, 1, 0), (1, 5, 1, 0), (1, 6, 1, 0), (1, 7, 1, 0), (1, 8, 1, 0), (1, 0, 2, 0), (1, 1, 2, 0), (1, 2, 2, 0), (1, 3, 2, 0), (1, 4, 2, 0), (1, 5, 2, 0), (1, 6, 2, 0), (1, 7, 2, 0), (1, 8, 2, 0), (1, 0, 3, 0), (1, 1, 3, 0), (1, 2, 3, 0), (1, 3, 3, 0), (1, 4, 3, 0), (1, 5, 3, 0), (1, 6, 3, 0), (1, 7, 3, 0), (1, 8, 3, 0), (2, 0, 0, 0), (2, 1, 0, 0), (2, 2, 0, 0), (2, 3, 0, 0), (2, 4, 0, 0), (2, 5, 0, 0), (2, 6, 0, 0), (2, 7, 0, 0), (2, 8, 0, 0), (2, 0, 1, 0), (2, 1, 1, 0), (2, 2, 1, 0), (2, 3, 1, 0), (2, 4, 1, 0), (2, 5, 1, 0), (2, 6, 1, 0), (2, 7, 1, 0), (2, 8, 1, 0), (2, 0, 2, 0), (2, 1, 2, 0), (2, 2, 2, 0), (2, 3, 2, 0), (2, 4, 2, 0), (2, 5, 2, 0), (2, 6, 2, 0), (2, 7, 2, 0), (2, 8, 2, 0), (2, 0, 3, 0), (2, 1, 3, 0), (2, 2, 3, 0), (2, 3, 3, 0), (2, 4, 3, 0), (2, 5, 3, 0), (2, 6, 3, 0), (2, 7, 3, 0), (2, 8, 3, 0)] */
v_mul_f32 v[vgprValuC+7], s[sgprAlpha], v[vgprValuC+7] // *= alpha
v_mul_f32 v[vgprValuC+9], s[sgprAlpha], v[vgprValuC+9] // *= alpha
v_mul_f32 v[vgprValuC+11], s[sgprAlpha], v[vgprValuC+11] // *= alpha
v_mul_f32 v[vgprValuC+13], s[sgprAlpha], v[vgprValuC+13] // *= alpha
v_mul_f32 v[vgprValuC+15], s[sgprAlpha], v[vgprValuC+15] // *= alpha
v_mul_f32 v[vgprValuC+17], s[sgprAlpha], v[vgprValuC+17] // *= alpha
v_mul_f32 v[vgprValuC+19], s[sgprAlpha], v[vgprValuC+19] // *= alpha
v_mul_f32 v[vgprValuC+21], s[sgprAlpha], v[vgprValuC+21] // *= alpha
v_mul_f32 v[vgprValuC+23], s[sgprAlpha], v[vgprValuC+23] // *= alpha
v_mul_f32 v[vgprValuC+25], s[sgprAlpha], v[vgprValuC+25] // *= alpha
v_mul_f32 v[vgprValuC+27], s[sgprAlpha], v[vgprValuC+27] // *= alpha
v_mul_f32 v[vgprValuC+29], s[sgprAlpha], v[vgprValuC+29] // *= alpha
v_mul_f32 v[vgprValuC+31], s[sgprAlpha], v[vgprValuC+31] // *= alpha
v_mul_f32 v[vgprValuC+33], s[sgprAlpha], v[vgprValuC+33] // *= alpha
v_mul_f32 v[vgprValuC+35], s[sgprAlpha], v[vgprValuC+35] // *= alpha
v_mul_f32 v[vgprValuC+37], s[sgprAlpha], v[vgprValuC+37] // *= alpha
v_mul_f32 v[vgprValuC+39], s[sgprAlpha], v[vgprValuC+39] // *= alpha
v_mul_f32 v[vgprValuC+41], s[sgprAlpha], v[vgprValuC+41] // *= alpha
v_mul_f32 v[vgprValuC+43], s[sgprAlpha], v[vgprValuC+43] // *= alpha
v_mul_f32 v[vgprValuC+45], s[sgprAlpha], v[vgprValuC+45] // *= alpha
v_mul_f32 v[vgprValuC+47], s[sgprAlpha], v[vgprValuC+47] // *= alpha
v_mul_f32 v[vgprValuC+49], s[sgprAlpha], v[vgprValuC+49] // *= alpha
v_mul_f32 v[vgprValuC+51], s[sgprAlpha], v[vgprValuC+51] // *= alpha
v_mul_f32 v[vgprValuC+53], s[sgprAlpha], v[vgprValuC+53] // *= alpha
v_mul_f32 v[vgprValuC+55], s[sgprAlpha], v[vgprValuC+55] // *= alpha
v_mul_f32 v[vgprValuC+57], s[sgprAlpha], v[vgprValuC+57] // *= alpha
v_mul_f32 v[vgprValuC+59], s[sgprAlpha], v[vgprValuC+59] // *= alpha
v_mul_f32 v[vgprValuC+61], s[sgprAlpha], v[vgprValuC+61] // *= alpha
v_mul_f32 v[vgprValuC+63], s[sgprAlpha], v[vgprValuC+63] // *= alpha
v_mul_f32 v[vgprValuC+65], s[sgprAlpha], v[vgprValuC+65] // *= alpha
v_mul_f32 v[vgprValuC+67], s[sgprAlpha], v[vgprValuC+67] // *= alpha
v_mul_f32 v[vgprValuC+69], s[sgprAlpha], v[vgprValuC+69] // *= alpha
v_mul_f32 v[vgprValuC+71], s[sgprAlpha], v[vgprValuC+71] // *= alpha
v_mul_f32 v[vgprValuC+73], s[sgprAlpha], v[vgprValuC+73] // *= alpha
v_mul_f32 v[vgprValuC+75], s[sgprAlpha], v[vgprValuC+75] // *= alpha
v_mul_f32 v[vgprValuC+77], s[sgprAlpha], v[vgprValuC+77] // *= alpha
v_mul_f32 v[vgprValuC+79], s[sgprAlpha], v[vgprValuC+79] // *= alpha
v_mul_f32 v[vgprValuC+81], s[sgprAlpha], v[vgprValuC+81] // *= alpha
v_mul_f32 v[vgprValuC+83], s[sgprAlpha], v[vgprValuC+83] // *= alpha
v_mul_f32 v[vgprValuC+85], s[sgprAlpha], v[vgprValuC+85] // *= alpha
v_mul_f32 v[vgprValuC+87], s[sgprAlpha], v[vgprValuC+87] // *= alpha
v_mul_f32 v[vgprValuC+89], s[sgprAlpha], v[vgprValuC+89] // *= alpha
v_mul_f32 v[vgprValuC+91], s[sgprAlpha], v[vgprValuC+91] // *= alpha
v_mul_f32 v[vgprValuC+93], s[sgprAlpha], v[vgprValuC+93] // *= alpha
v_mul_f32 v[vgprValuC+98], s[sgprAlpha], v[vgprValuC+98] // *= alpha
v_mul_f32 v[vgprValuC+100], s[sgprAlpha], v[vgprValuC+100] // *= alpha
v_mul_f32 v[vgprValuC+102], s[sgprAlpha], v[vgprValuC+102] // *= alpha
v_mul_f32 v[vgprValuC+104], s[sgprAlpha], v[vgprValuC+104] // *= alpha
v_mul_f32 v[vgprValuC+106], s[sgprAlpha], v[vgprValuC+106] // *= alpha
v_mul_f32 v[vgprValuC+108], s[sgprAlpha], v[vgprValuC+108] // *= alpha
v_mul_f32 v[vgprValuC+110], s[sgprAlpha], v[vgprValuC+110] // *= alpha
v_mul_f32 v[vgprValuC+112], s[sgprAlpha], v[vgprValuC+112] // *= alpha
v_mul_f32 v[vgprValuC+114], s[sgprAlpha], v[vgprValuC+114] // *= alpha
v_mul_f32 v[vgprValuC+116], s[sgprAlpha], v[vgprValuC+116] // *= alpha
v_mul_f32 v[vgprValuC+118], s[sgprAlpha], v[vgprValuC+118] // *= alpha
v_mul_f32 v[vgprValuC+120], s[sgprAlpha], v[vgprValuC+120] // *= alpha
v_mul_f32 v[vgprValuC+122], s[sgprAlpha], v[vgprValuC+122] // *= alpha
v_mul_f32 v[vgprValuC+124], s[sgprAlpha], v[vgprValuC+124] // *= alpha
v_mul_f32 v[vgprValuC+126], s[sgprAlpha], v[vgprValuC+126] // *= alpha
v_mul_f32 v[vgprValuC+128], s[sgprAlpha], v[vgprValuC+128] // *= alpha
v_mul_f32 v[vgprValuC+130], s[sgprAlpha], v[vgprValuC+130] // *= alpha
v_mul_f32 v[vgprValuC+132], s[sgprAlpha], v[vgprValuC+132] // *= alpha
v_mul_f32 v[vgprValuC+134], s[sgprAlpha], v[vgprValuC+134] // *= alpha
v_mul_f32 v[vgprValuC+136], s[sgprAlpha], v[vgprValuC+136] // *= alpha
v_mul_f32 v[vgprValuC+138], s[sgprAlpha], v[vgprValuC+138] // *= alpha
v_mul_f32 v[vgprValuC+140], s[sgprAlpha], v[vgprValuC+140] // *= alpha
v_mul_f32 v[vgprValuC+142], s[sgprAlpha], v[vgprValuC+142] // *= alpha
v_mul_f32 v[vgprValuC+144], s[sgprAlpha], v[vgprValuC+144] // *= alpha
v_mul_f32 v[vgprValuC+146], s[sgprAlpha], v[vgprValuC+146] // *= alpha
v_mul_f32 v[vgprValuC+148], s[sgprAlpha], v[vgprValuC+148] // *= alpha
v_mul_f32 v[vgprValuC+150], s[sgprAlpha], v[vgprValuC+150] // *= alpha
v_mul_f32 v[vgprValuC+152], s[sgprAlpha], v[vgprValuC+152] // *= alpha
v_mul_f32 v[vgprValuC+154], s[sgprAlpha], v[vgprValuC+154] // *= alpha
v_mul_f32 v[vgprValuC+156], s[sgprAlpha], v[vgprValuC+156] // *= alpha
v_mul_f32 v[vgprValuC+158], s[sgprAlpha], v[vgprValuC+158] // *= alpha
v_mul_f32 v[vgprValuC+160], s[sgprAlpha], v[vgprValuC+160] // *= alpha
v_mul_f32 v[vgprValuC+162], s[sgprAlpha], v[vgprValuC+162] // *= alpha
v_mul_f32 v[vgprValuC+164], s[sgprAlpha], v[vgprValuC+164] // *= alpha
v_mul_f32 v[vgprValuC+166], s[sgprAlpha], v[vgprValuC+166] // *= alpha
v_mul_f32 v[vgprValuC+168], s[sgprAlpha], v[vgprValuC+168] // *= alpha
v_mul_f32 v[vgprValuC+170], s[sgprAlpha], v[vgprValuC+170] // *= alpha
v_mul_f32 v[vgprValuC+172], s[sgprAlpha], v[vgprValuC+172] // *= alpha
v_mul_f32 v[vgprValuC+174], s[sgprAlpha], v[vgprValuC+174] // *= alpha
v_mul_f32 v[vgprValuC+176], s[sgprAlpha], v[vgprValuC+176] // *= alpha
v_mul_f32 v[vgprValuC+178], s[sgprAlpha], v[vgprValuC+178] // *= alpha
v_mul_f32 v[vgprValuC+180], s[sgprAlpha], v[vgprValuC+180] // *= alpha
v_mul_f32 v[vgprValuC+182], s[sgprAlpha], v[vgprValuC+182] // *= alpha
v_mul_f32 v[vgprValuC+184], s[sgprAlpha], v[vgprValuC+184] // *= alpha
v_mul_f32 v[vgprValuC+186], s[sgprAlpha], v[vgprValuC+186] // *= alpha
v_mul_f32 v[vgprValuC+188], s[sgprAlpha], v[vgprValuC+188] // *= alpha
v_mul_f32 v[vgprValuC+190], s[sgprAlpha], v[vgprValuC+190] // *= alpha
v_mul_f32 v[vgprValuC+192], s[sgprAlpha], v[vgprValuC+192] // *= alpha
v_mul_f32 v[vgprValuC+194], s[sgprAlpha], v[vgprValuC+194] // *= alpha
v_mul_f32 v[vgprValuC+196], s[sgprAlpha], v[vgprValuC+196] // *= alpha
v_mul_f32 v[vgprValuC+198], s[sgprAlpha], v[vgprValuC+198] // *= alpha
v_mul_f32 v[vgprValuC+200], s[sgprAlpha], v[vgprValuC+200] // *= alpha
v_mul_f32 v[vgprValuC+202], s[sgprAlpha], v[vgprValuC+202] // *= alpha
v_mul_f32 v[vgprValuC+204], s[sgprAlpha], v[vgprValuC+204] // *= alpha
v_mul_f32 v[vgprValuC+206], s[sgprAlpha], v[vgprValuC+206] // *= alpha
v_mul_f32 v[vgprValuC+208], s[sgprAlpha], v[vgprValuC+208] // *= alpha
v_mul_f32 v[vgprValuC+210], s[sgprAlpha], v[vgprValuC+210] // *= alpha
v_mul_f32 v[vgprValuC+212], s[sgprAlpha], v[vgprValuC+212] // *= alpha
v_mul_f32 v[vgprValuC+214], s[sgprAlpha], v[vgprValuC+214] // *= alpha
v_mul_f32 v[vgprValuC+216], s[sgprAlpha], v[vgprValuC+216] // *= alpha
v_mul_f32 v[vgprValuC+218], s[sgprAlpha], v[vgprValuC+218] // *= alpha
v_mul_f32 v[vgprValuC+220], s[sgprAlpha], v[vgprValuC+220] // *= alpha
v_mul_f32 v[vgprValuC+222], s[sgprAlpha], v[vgprValuC+222] // *= alpha
v_mul_f32 v[vgprValuC+224], s[sgprAlpha], v[vgprValuC+224] // *= alpha

/* apply mask, calc new C and issue writes */
v_cvt_f16_f32 v[vgprValuC+7], v[vgprValuC+7]       // convert C to fp16
_buffer_store_b16 v7, v6, s[sgprSrdD:sgprSrdD+3], 0, offen, offset:0 // store D
v_cvt_f16_f32 v[vgprValuC+9], v[vgprValuC+9]       // convert C to fp16
_buffer_store_b16 v9, v8, s[sgprSrdD:sgprSrdD+3], 0, offen, offset:0 // store D
v_cvt_f16_f32 v[vgprValuC+11], v[vgprValuC+11]     // convert C to fp16
_buffer_store_b16 v11, v10, s[sgprSrdD:sgprSrdD+3], 0, offen, offset:0 // store D
v_cvt_f16_f32 v[vgprValuC+13], v[vgprValuC+13]     // convert C to fp16
	;; [unrolled: 2-line block ×43, first 2 shown]
_buffer_store_b16 v98, v97, s[sgprSrdD:sgprSrdD+3], 0, offen, offset:0 // store D
v_cvt_f16_f32 v[vgprValuC+100], v[vgprValuC+100]   // convert C to fp16
_buffer_store_b16 v100, v99, s[sgprSrdD:sgprSrdD+3], 0, offen, offset:0 // store D
v_cvt_f16_f32 v[vgprValuC+102], v[vgprValuC+102]   // convert C to fp16
	;; [unrolled: 2-line block ×63, first 2 shown]
_buffer_store_b16 v224, v223, s[sgprSrdD:sgprSrdD+3], 0, offen, offset:0 // store D
s_nop 0                                            // 1 wait state required when next inst writes vgprs held by previous dwordx4 store inst
s_branch label_GW_End_44                           // jump to end
GW_Beta_45:
s_mov_b32 s55, 0x0                                 // STATIC_DIV: divisior=144
s_mul_i32 s54, 0x38e, s[sgprSizeI]                 // tmp1 = dividend * magic hi
s_lshl_b64 s[54:55], s[54:55], 0x10                // left shift 16 bits
s_mul_i32 s53, s[sgprSizeI], 0x38e4                // tmp0 = dividend * magic lo
s_add_u32 s54, s53, s54                            // add lo
s_addc_u32 s55, s55, 0x0                           // add hi
s_lshr_b64 s[54:55], s[54:55], 0x21                // tmp1 = (dividend * magic) << shift
s_mov_b32 s53, s54                                 // quotient
s_mul_i32 s54, s53, 0x90                           // quotient*divisor
s_sub_u32 s52, s[sgprSizeI], s54                   // rReg = dividend - quotient*divisor
s_add_u32 s53, -0x1, s[sgprNumWorkGroups0]         // 
s_cmp_ge_u32 s[sgprWorkGroup0], s53                // wg0 >= nwg0-1 ?
s_cselect_b32 s52, s52, 0                          // set rMT0
s_cmpk_gt_u32 s52, 0x0                             // rMT0 > 0
s_cbranch_scc1 GW_B1_E1_43                         // jump if edges required
s_mov_b32 s55, 0x0                                 // STATIC_DIV: divisior=192
s_mul_i32 s54, 0x2aa, s[sgprSizeJ]                 // tmp1 = dividend * magic hi
s_lshl_b64 s[54:55], s[54:55], 0x10                // left shift 16 bits
s_mul_i32 s53, s[sgprSizeJ], 0xaaab                // tmp0 = dividend * magic lo
s_add_u32 s54, s53, s54                            // add lo
s_addc_u32 s55, s55, 0x0                           // add hi
s_lshr_b64 s[54:55], s[54:55], 0x21                // tmp1 = (dividend * magic) << shift
s_mov_b32 s53, s54                                 // quotient
s_mul_i32 s54, s53, 0xc0                           // quotient*divisor
s_sub_u32 s52, s[sgprSizeJ], s54                   // rReg = dividend - quotient*divisor
s_add_u32 s53, -0x1, s[sgprNumWorkGroups1]         // 
s_cmp_ge_u32 s[sgprWorkGroup1], s53                // wg1 >= nwg1-1
s_cselect_b32 s52, s52, 0                          // set rMT1
s_cmpk_gt_u32 s52, 0x0                             // rMT1 > 0
s_cbranch_scc1 GW_B1_E1_43                         // jump if edges required
GW_B1_E0_40:

/* edge=0, allocate 2 sgpr. perBatchTmpS=2 perBatchMaskS=0 perElementMaskS=0 elementsPerBatch=122 */
/* optSingleColVgpr=1 optSharedColVgpr=0 optSGPRUsage=BufferLoad_Mask optSrdIncForRow=1 */

/******************************************/
/* Global Write Alpha Beta Batch #0 (d1,d0,vc1,vc0) = */
/*    (0,0,0,0:vw1); (0,1,0,0:vw1); (0,2,0,0:vw1); (0,3,0,0:vw1); (0,4,0,0:vw1); (0,5,0,0:vw1); (0,6,0,0:vw1); (0,7,0,0:vw1); (0,8,0,0:vw1); (0,0,1,0:vw1); (0,1,1,0:vw1); (0,2,1,0:vw1); (0,3,1,0:vw1); (0,4,1,0:vw1); (0,5,1,0:vw1); (0,6,1,0:vw1); (0,7,1,0:vw1); (0,8,1,0:vw1); (0,0,2,0:vw1); (0,1,2,0:vw1); (0,2,2,0:vw1); (0,3,2,0:vw1); (0,4,2,0:vw1); (0,5,2,0:vw1); (0,6,2,0:vw1); (0,7,2,0:vw1); (0,8,2,0:vw1); (0,0,3,0:vw1); (0,1,3,0:vw1); (0,2,3,0:vw1); (0,3,3,0:vw1); (0,4,3,0:vw1); (0,5,3,0:vw1); (0,6,3,0:vw1); (0,7,3,0:vw1); (0,8,3,0:vw1); (1,0,0,0:vw1); (1,1,0,0:vw1); (1,2,0,0:vw1); (1,3,0,0:vw1); (1,4,0,0:vw1); (1,5,0,0:vw1); (1,6,0,0:vw1); (1,7,0,0:vw1); (1,8,0,0:vw1); (1,0,1,0:vw1); (1,1,1,0:vw1); (1,2,1,0:vw1); (1,3,1,0:vw1); (1,4,1,0:vw1); (1,5,1,0:vw1); (1,6,1,0:vw1); (1,7,1,0:vw1); (1,8,1,0:vw1); (1,0,2,0:vw1); (1,1,2,0:vw1); (1,2,2,0:vw1); (1,3,2,0:vw1); (1,4,2,0:vw1); (1,5,2,0:vw1); (1,6,2,0:vw1); (1,7,2,0:vw1); (1,8,2,0:vw1); (1,0,3,0:vw1); (1,1,3,0:vw1); (1,2,3,0:vw1); (1,3,3,0:vw1); (1,4,3,0:vw1); (1,5,3,0:vw1); (1,6,3,0:vw1); (1,7,3,0:vw1); (1,8,3,0:vw1); (2,0,0,0:vw1); (2,1,0,0:vw1); (2,2,0,0:vw1); (2,3,0,0:vw1); (2,4,0,0:vw1); (2,5,0,0:vw1); (2,6,0,0:vw1); (2,7,0,0:vw1); (2,8,0,0:vw1); (2,0,1,0:vw1); (2,1,1,0:vw1); (2,2,1,0:vw1); (2,3,1,0:vw1); (2,4,1,0:vw1); (2,5,1,0:vw1); (2,6,1,0:vw1); (2,7,1,0:vw1); (2,8,1,0:vw1); (2,0,2,0:vw1); (2,1,2,0:vw1); (2,2,2,0:vw1); (2,3,2,0:vw1); (2,4,2,0:vw1); (2,5,2,0:vw1); (2,6,2,0:vw1); (2,7,2,0:vw1); (2,8,2,0:vw1); (2,0,3,0:vw1); (2,1,3,0:vw1); (2,2,3,0:vw1); (2,3,3,0:vw1); (2,4,3,0:vw1); (2,5,3,0:vw1); (2,6,3,0:vw1); (2,7,3,0:vw1); (2,8,3,0:vw1) */
/******************************************/

/* calc coords, apply mask, and issue loads (if necessary) */
/* (d1,vc1,d0,vc0)=(0,0,0,0) */
_v_add_lshl_u32 v7, v2, v0, 0x1                    // optSingleColVgpr scaleToBpe: sharedAddrVgpr <- cinRowPtr + coord0, scaled by BPE. BSHERE:coord0=0, coord0Vgpr=0
_buffer_load_d16_b16 v8, v7, s[sgprSrdC:sgprSrdC+3], 0, offen offset:0 // load C for beta calc
/* (d1,vc1,d0,vc0)=(0,0,1,0) */
_buffer_load_d16_b16 v10, v7, s[sgprSrdC:sgprSrdC+3], 0, offen offset:32 // load C for beta calc
/* (d1,vc1,d0,vc0)=(0,0,2,0) */
_buffer_load_d16_b16 v12, v7, s[sgprSrdC:sgprSrdC+3], 0, offen offset:64 // load C for beta calc
/* (d1,vc1,d0,vc0)=(0,0,3,0) */
_buffer_load_d16_b16 v14, v7, s[sgprSrdC:sgprSrdC+3], 0, offen offset:96 // load C for beta calc
/* (d1,vc1,d0,vc0)=(0,0,4,0) */
_buffer_load_d16_b16 v16, v7, s[sgprSrdC:sgprSrdC+3], 0, offen offset:128 // load C for beta calc
/* (d1,vc1,d0,vc0)=(0,0,5,0) */
_buffer_load_d16_b16 v18, v7, s[sgprSrdC:sgprSrdC+3], 0, offen offset:160 // load C for beta calc
/* (d1,vc1,d0,vc0)=(0,0,6,0) */
_buffer_load_d16_b16 v20, v7, s[sgprSrdC:sgprSrdC+3], 0, offen offset:192 // load C for beta calc
/* (d1,vc1,d0,vc0)=(0,0,7,0) */
_buffer_load_d16_b16 v22, v7, s[sgprSrdC:sgprSrdC+3], 0, offen offset:224 // load C for beta calc
/* (d1,vc1,d0,vc0)=(0,0,8,0) */
_buffer_load_d16_b16 v24, v7, s[sgprSrdC:sgprSrdC+3], 0, offen offset:256 // load C for beta calc
/* (d1,vc1,d0,vc0)=(0,1,0,0) */
s_lshl_b32  s52, s[sgprStrideC1J], 1               // incToNextRow: Scale by BPE
s_add_u32  s[sgprSrdC+0], s[sgprSrdC+0], s52       // incToNextRow: gra SRD += inc(lower)
s_addc_u32  s[sgprSrdC+1], s[sgprSrdC+1], 0        // incToNextRow: gra SRD += inc(upper)
_buffer_load_d16_b16 v26, v7, s[sgprSrdC:sgprSrdC+3], 0, offen offset:0 // load C for beta calc
/* (d1,vc1,d0,vc0)=(0,1,1,0) */
_buffer_load_d16_b16 v28, v7, s[sgprSrdC:sgprSrdC+3], 0, offen offset:32 // load C for beta calc
/* (d1,vc1,d0,vc0)=(0,1,2,0) */
_buffer_load_d16_b16 v30, v7, s[sgprSrdC:sgprSrdC+3], 0, offen offset:64 // load C for beta calc
/* (d1,vc1,d0,vc0)=(0,1,3,0) */
_buffer_load_d16_b16 v32, v7, s[sgprSrdC:sgprSrdC+3], 0, offen offset:96 // load C for beta calc
/* (d1,vc1,d0,vc0)=(0,1,4,0) */
_buffer_load_d16_b16 v34, v7, s[sgprSrdC:sgprSrdC+3], 0, offen offset:128 // load C for beta calc
/* (d1,vc1,d0,vc0)=(0,1,5,0) */
_buffer_load_d16_b16 v36, v7, s[sgprSrdC:sgprSrdC+3], 0, offen offset:160 // load C for beta calc
/* (d1,vc1,d0,vc0)=(0,1,6,0) */
_buffer_load_d16_b16 v38, v7, s[sgprSrdC:sgprSrdC+3], 0, offen offset:192 // load C for beta calc
/* (d1,vc1,d0,vc0)=(0,1,7,0) */
_buffer_load_d16_b16 v40, v7, s[sgprSrdC:sgprSrdC+3], 0, offen offset:224 // load C for beta calc
/* (d1,vc1,d0,vc0)=(0,1,8,0) */
_buffer_load_d16_b16 v42, v7, s[sgprSrdC:sgprSrdC+3], 0, offen offset:256 // load C for beta calc
/* (d1,vc1,d0,vc0)=(0,2,0,0) */
s_lshl_b32  s52, s[sgprStrideC1J], 1               // incToNextRow: Scale by BPE
s_add_u32  s[sgprSrdC+0], s[sgprSrdC+0], s52       // incToNextRow: gra SRD += inc(lower)
s_addc_u32  s[sgprSrdC+1], s[sgprSrdC+1], 0        // incToNextRow: gra SRD += inc(upper)
	;; [unrolled: 21-line block ×3, first 2 shown]
_buffer_load_d16_b16 v62, v7, s[sgprSrdC:sgprSrdC+3], 0, offen offset:0 // load C for beta calc
/* (d1,vc1,d0,vc0)=(0,3,1,0) */
_buffer_load_d16_b16 v64, v7, s[sgprSrdC:sgprSrdC+3], 0, offen offset:32 // load C for beta calc
/* (d1,vc1,d0,vc0)=(0,3,2,0) */
	;; [unrolled: 2-line block ×9, first 2 shown]
s_mul_i32 s52, s[sgprStrideC1J], 122               // scale StrideC *= numRows(61) * bpe
s_add_u32  s[sgprSrdC+0], s[sgprSrdC+0], s52       // incToNextRow: gra SRD += inc(lower)
s_addc_u32  s[sgprSrdC+1], s[sgprSrdC+1], 0        // incToNextRow: gra SRD += inc(upper)
_buffer_load_d16_b16 v80, v7, s[sgprSrdC:sgprSrdC+3], 0, offen offset:0 // load C for beta calc
/* (d1,vc1,d0,vc0)=(1,0,1,0) */
_buffer_load_d16_b16 v82, v7, s[sgprSrdC:sgprSrdC+3], 0, offen offset:32 // load C for beta calc
/* (d1,vc1,d0,vc0)=(1,0,2,0) */
_buffer_load_d16_b16 v84, v7, s[sgprSrdC:sgprSrdC+3], 0, offen offset:64 // load C for beta calc
/* (d1,vc1,d0,vc0)=(1,0,3,0) */
_buffer_load_d16_b16 v86, v7, s[sgprSrdC:sgprSrdC+3], 0, offen offset:96 // load C for beta calc
/* (d1,vc1,d0,vc0)=(1,0,4,0) */
_buffer_load_d16_b16 v88, v7, s[sgprSrdC:sgprSrdC+3], 0, offen offset:128 // load C for beta calc
/* (d1,vc1,d0,vc0)=(1,0,5,0) */
_buffer_load_d16_b16 v90, v7, s[sgprSrdC:sgprSrdC+3], 0, offen offset:160 // load C for beta calc
/* (d1,vc1,d0,vc0)=(1,0,6,0) */
_buffer_load_d16_b16 v92, v7, s[sgprSrdC:sgprSrdC+3], 0, offen offset:192 // load C for beta calc
/* (d1,vc1,d0,vc0)=(1,0,7,0) */
_buffer_load_d16_b16 v97, v7, s[sgprSrdC:sgprSrdC+3], 0, offen offset:224 // load C for beta calc
/* (d1,vc1,d0,vc0)=(1,0,8,0) */
_buffer_load_d16_b16 v99, v7, s[sgprSrdC:sgprSrdC+3], 0, offen offset:256 // load C for beta calc
/* (d1,vc1,d0,vc0)=(1,1,0,0) */
s_lshl_b32  s52, s[sgprStrideC1J], 1               // incToNextRow: Scale by BPE
s_add_u32  s[sgprSrdC+0], s[sgprSrdC+0], s52       // incToNextRow: gra SRD += inc(lower)
s_addc_u32  s[sgprSrdC+1], s[sgprSrdC+1], 0        // incToNextRow: gra SRD += inc(upper)
_buffer_load_d16_b16 v101, v7, s[sgprSrdC:sgprSrdC+3], 0, offen offset:0 // load C for beta calc
/* (d1,vc1,d0,vc0)=(1,1,1,0) */
_buffer_load_d16_b16 v103, v7, s[sgprSrdC:sgprSrdC+3], 0, offen offset:32 // load C for beta calc
/* (d1,vc1,d0,vc0)=(1,1,2,0) */
_buffer_load_d16_b16 v105, v7, s[sgprSrdC:sgprSrdC+3], 0, offen offset:64 // load C for beta calc
/* (d1,vc1,d0,vc0)=(1,1,3,0) */
_buffer_load_d16_b16 v107, v7, s[sgprSrdC:sgprSrdC+3], 0, offen offset:96 // load C for beta calc
/* (d1,vc1,d0,vc0)=(1,1,4,0) */
_buffer_load_d16_b16 v109, v7, s[sgprSrdC:sgprSrdC+3], 0, offen offset:128 // load C for beta calc
/* (d1,vc1,d0,vc0)=(1,1,5,0) */
_buffer_load_d16_b16 v111, v7, s[sgprSrdC:sgprSrdC+3], 0, offen offset:160 // load C for beta calc
/* (d1,vc1,d0,vc0)=(1,1,6,0) */
_buffer_load_d16_b16 v113, v7, s[sgprSrdC:sgprSrdC+3], 0, offen offset:192 // load C for beta calc
/* (d1,vc1,d0,vc0)=(1,1,7,0) */
_buffer_load_d16_b16 v115, v7, s[sgprSrdC:sgprSrdC+3], 0, offen offset:224 // load C for beta calc
/* (d1,vc1,d0,vc0)=(1,1,8,0) */
_buffer_load_d16_b16 v117, v7, s[sgprSrdC:sgprSrdC+3], 0, offen offset:256 // load C for beta calc
/* (d1,vc1,d0,vc0)=(1,2,0,0) */
s_lshl_b32  s52, s[sgprStrideC1J], 1               // incToNextRow: Scale by BPE
	;; [unrolled: 21-line block ×3, first 2 shown]
s_add_u32  s[sgprSrdC+0], s[sgprSrdC+0], s52       // incToNextRow: gra SRD += inc(lower)
s_addc_u32  s[sgprSrdC+1], s[sgprSrdC+1], 0        // incToNextRow: gra SRD += inc(upper)
_buffer_load_d16_b16 v137, v7, s[sgprSrdC:sgprSrdC+3], 0, offen offset:0 // load C for beta calc
/* (d1,vc1,d0,vc0)=(1,3,1,0) */
_buffer_load_d16_b16 v139, v7, s[sgprSrdC:sgprSrdC+3], 0, offen offset:32 // load C for beta calc
/* (d1,vc1,d0,vc0)=(1,3,2,0) */
	;; [unrolled: 2-line block ×9, first 2 shown]
s_mul_i32 s52, s[sgprStrideC1J], 122               // scale StrideC *= numRows(61) * bpe
s_add_u32  s[sgprSrdC+0], s[sgprSrdC+0], s52       // incToNextRow: gra SRD += inc(lower)
s_addc_u32  s[sgprSrdC+1], s[sgprSrdC+1], 0        // incToNextRow: gra SRD += inc(upper)
_buffer_load_d16_b16 v155, v7, s[sgprSrdC:sgprSrdC+3], 0, offen offset:0 // load C for beta calc
/* (d1,vc1,d0,vc0)=(2,0,1,0) */
_buffer_load_d16_b16 v157, v7, s[sgprSrdC:sgprSrdC+3], 0, offen offset:32 // load C for beta calc
/* (d1,vc1,d0,vc0)=(2,0,2,0) */
_buffer_load_d16_b16 v159, v7, s[sgprSrdC:sgprSrdC+3], 0, offen offset:64 // load C for beta calc
/* (d1,vc1,d0,vc0)=(2,0,3,0) */
_buffer_load_d16_b16 v161, v7, s[sgprSrdC:sgprSrdC+3], 0, offen offset:96 // load C for beta calc
/* (d1,vc1,d0,vc0)=(2,0,4,0) */
_buffer_load_d16_b16 v163, v7, s[sgprSrdC:sgprSrdC+3], 0, offen offset:128 // load C for beta calc
/* (d1,vc1,d0,vc0)=(2,0,5,0) */
_buffer_load_d16_b16 v165, v7, s[sgprSrdC:sgprSrdC+3], 0, offen offset:160 // load C for beta calc
/* (d1,vc1,d0,vc0)=(2,0,6,0) */
_buffer_load_d16_b16 v167, v7, s[sgprSrdC:sgprSrdC+3], 0, offen offset:192 // load C for beta calc
/* (d1,vc1,d0,vc0)=(2,0,7,0) */
_buffer_load_d16_b16 v169, v7, s[sgprSrdC:sgprSrdC+3], 0, offen offset:224 // load C for beta calc
/* (d1,vc1,d0,vc0)=(2,0,8,0) */
_buffer_load_d16_b16 v171, v7, s[sgprSrdC:sgprSrdC+3], 0, offen offset:256 // load C for beta calc
/* (d1,vc1,d0,vc0)=(2,1,0,0) */
s_lshl_b32  s52, s[sgprStrideC1J], 1               // incToNextRow: Scale by BPE
s_add_u32  s[sgprSrdC+0], s[sgprSrdC+0], s52       // incToNextRow: gra SRD += inc(lower)
s_addc_u32  s[sgprSrdC+1], s[sgprSrdC+1], 0        // incToNextRow: gra SRD += inc(upper)
_buffer_load_d16_b16 v173, v7, s[sgprSrdC:sgprSrdC+3], 0, offen offset:0 // load C for beta calc
/* (d1,vc1,d0,vc0)=(2,1,1,0) */
_buffer_load_d16_b16 v175, v7, s[sgprSrdC:sgprSrdC+3], 0, offen offset:32 // load C for beta calc
/* (d1,vc1,d0,vc0)=(2,1,2,0) */
_buffer_load_d16_b16 v177, v7, s[sgprSrdC:sgprSrdC+3], 0, offen offset:64 // load C for beta calc
/* (d1,vc1,d0,vc0)=(2,1,3,0) */
_buffer_load_d16_b16 v179, v7, s[sgprSrdC:sgprSrdC+3], 0, offen offset:96 // load C for beta calc
/* (d1,vc1,d0,vc0)=(2,1,4,0) */
_buffer_load_d16_b16 v181, v7, s[sgprSrdC:sgprSrdC+3], 0, offen offset:128 // load C for beta calc
/* (d1,vc1,d0,vc0)=(2,1,5,0) */
_buffer_load_d16_b16 v183, v7, s[sgprSrdC:sgprSrdC+3], 0, offen offset:160 // load C for beta calc
/* (d1,vc1,d0,vc0)=(2,1,6,0) */
_buffer_load_d16_b16 v185, v7, s[sgprSrdC:sgprSrdC+3], 0, offen offset:192 // load C for beta calc
/* (d1,vc1,d0,vc0)=(2,1,7,0) */
_buffer_load_d16_b16 v187, v7, s[sgprSrdC:sgprSrdC+3], 0, offen offset:224 // load C for beta calc
/* (d1,vc1,d0,vc0)=(2,1,8,0) */
_buffer_load_d16_b16 v189, v7, s[sgprSrdC:sgprSrdC+3], 0, offen offset:256 // load C for beta calc
/* (d1,vc1,d0,vc0)=(2,2,0,0) */
s_lshl_b32  s52, s[sgprStrideC1J], 1               // incToNextRow: Scale by BPE
s_add_u32  s[sgprSrdC+0], s[sgprSrdC+0], s52       // incToNextRow: gra SRD += inc(lower)
s_addc_u32  s[sgprSrdC+1], s[sgprSrdC+1], 0        // incToNextRow: gra SRD += inc(upper)
_buffer_load_d16_b16 v191, v7, s[sgprSrdC:sgprSrdC+3], 0, offen offset:0 // load C for beta calc
/* (d1,vc1,d0,vc0)=(2,2,1,0) */
_buffer_load_d16_b16 v193, v7, s[sgprSrdC:sgprSrdC+3], 0, offen offset:32 // load C for beta calc
/* (d1,vc1,d0,vc0)=(2,2,2,0) */
_buffer_load_d16_b16 v195, v7, s[sgprSrdC:sgprSrdC+3], 0, offen offset:64 // load C for beta calc
/* (d1,vc1,d0,vc0)=(2,2,3,0) */
_buffer_load_d16_b16 v197, v7, s[sgprSrdC:sgprSrdC+3], 0, offen offset:96 // load C for beta calc
/* (d1,vc1,d0,vc0)=(2,2,4,0) */
_buffer_load_d16_b16 v199, v7, s[sgprSrdC:sgprSrdC+3], 0, offen offset:128 // load C for beta calc
/* (d1,vc1,d0,vc0)=(2,2,5,0) */
_buffer_load_d16_b16 v201, v7, s[sgprSrdC:sgprSrdC+3], 0, offen offset:160 // load C for beta calc
/* (d1,vc1,d0,vc0)=(2,2,6,0) */
_buffer_load_d16_b16 v203, v7, s[sgprSrdC:sgprSrdC+3], 0, offen offset:192 // load C for beta calc
/* (d1,vc1,d0,vc0)=(2,2,7,0) */
_buffer_load_d16_b16 v205, v7, s[sgprSrdC:sgprSrdC+3], 0, offen offset:224 // load C for beta calc
/* (d1,vc1,d0,vc0)=(2,2,8,0) */
_buffer_load_d16_b16 v207, v7, s[sgprSrdC:sgprSrdC+3], 0, offen offset:256 // load C for beta calc
/* (d1,vc1,d0,vc0)=(2,3,0,0) */
s_lshl_b32  s52, s[sgprStrideC1J], 1               // incToNextRow: Scale by BPE
s_add_u32  s[sgprSrdC+0], s[sgprSrdC+0], s52       // incToNextRow: gra SRD += inc(lower)
s_addc_u32  s[sgprSrdC+1], s[sgprSrdC+1], 0        // incToNextRow: gra SRD += inc(upper)
_buffer_load_d16_b16 v209, v7, s[sgprSrdC:sgprSrdC+3], 0, offen offset:0 // load C for beta calc
/* (d1,vc1,d0,vc0)=(2,3,1,0) */
_buffer_load_d16_b16 v211, v7, s[sgprSrdC:sgprSrdC+3], 0, offen offset:32 // load C for beta calc
/* (d1,vc1,d0,vc0)=(2,3,2,0) */
	;; [unrolled: 2-line block ×8, first 2 shown]
_buffer_load_d16_b16 v225, v7, s[sgprSrdC:sgprSrdC+3], 0, offen offset:256 // load C for beta calc
_v_add_lshl_u32 v6, v3, v0, 0x1                    // optSingleColVgpr scaleToBpe: sharedAddrVgpr <- cinRowPtr + coord0, scaled by BPE. BSHERE:coord0=0, coord0Vgpr=0
v_accvgpr_read_b32 v[vgprValuC+9], acc0 // copy acc to vreg[0]
v_accvgpr_read_b32 v[vgprValuC+11], acc4 // copy acc to vreg[1]
v_accvgpr_read_b32 v[vgprValuC+13], acc8 // copy acc to vreg[2]
v_accvgpr_read_b32 v[vgprValuC+15], acc12 // copy acc to vreg[3]
v_accvgpr_read_b32 v[vgprValuC+17], acc16 // copy acc to vreg[4]
v_accvgpr_read_b32 v[vgprValuC+19], acc20 // copy acc to vreg[5]
v_accvgpr_read_b32 v[vgprValuC+21], acc24 // copy acc to vreg[6]
v_accvgpr_read_b32 v[vgprValuC+23], acc28 // copy acc to vreg[7]
v_accvgpr_read_b32 v[vgprValuC+25], acc32 // copy acc to vreg[8]
v_accvgpr_read_b32 v[vgprValuC+27], acc1 // copy acc to vreg[9]
v_accvgpr_read_b32 v[vgprValuC+29], acc5 // copy acc to vreg[10]
v_accvgpr_read_b32 v[vgprValuC+31], acc9 // copy acc to vreg[11]
v_accvgpr_read_b32 v[vgprValuC+33], acc13 // copy acc to vreg[12]
v_accvgpr_read_b32 v[vgprValuC+35], acc17 // copy acc to vreg[13]
v_accvgpr_read_b32 v[vgprValuC+37], acc21 // copy acc to vreg[14]
v_accvgpr_read_b32 v[vgprValuC+39], acc25 // copy acc to vreg[15]
v_accvgpr_read_b32 v[vgprValuC+41], acc29 // copy acc to vreg[16]
v_accvgpr_read_b32 v[vgprValuC+43], acc33 // copy acc to vreg[17]
v_accvgpr_read_b32 v[vgprValuC+45], acc2 // copy acc to vreg[18]
v_accvgpr_read_b32 v[vgprValuC+47], acc6 // copy acc to vreg[19]
v_accvgpr_read_b32 v[vgprValuC+49], acc10 // copy acc to vreg[20]
v_accvgpr_read_b32 v[vgprValuC+51], acc14 // copy acc to vreg[21]
v_accvgpr_read_b32 v[vgprValuC+53], acc18 // copy acc to vreg[22]
v_accvgpr_read_b32 v[vgprValuC+55], acc22 // copy acc to vreg[23]
v_accvgpr_read_b32 v[vgprValuC+57], acc26 // copy acc to vreg[24]
v_accvgpr_read_b32 v[vgprValuC+59], acc30 // copy acc to vreg[25]
v_accvgpr_read_b32 v[vgprValuC+61], acc34 // copy acc to vreg[26]
v_accvgpr_read_b32 v[vgprValuC+63], acc3 // copy acc to vreg[27]
v_accvgpr_read_b32 v[vgprValuC+65], acc7 // copy acc to vreg[28]
v_accvgpr_read_b32 v[vgprValuC+67], acc11 // copy acc to vreg[29]
v_accvgpr_read_b32 v[vgprValuC+69], acc15 // copy acc to vreg[30]
v_accvgpr_read_b32 v[vgprValuC+71], acc19 // copy acc to vreg[31]
v_accvgpr_read_b32 v[vgprValuC+73], acc23 // copy acc to vreg[32]
v_accvgpr_read_b32 v[vgprValuC+75], acc27 // copy acc to vreg[33]
v_accvgpr_read_b32 v[vgprValuC+77], acc31 // copy acc to vreg[34]
v_accvgpr_read_b32 v[vgprValuC+79], acc35 // copy acc to vreg[35]
v_accvgpr_read_b32 v[vgprValuC+81], acc36 // copy acc to vreg[36]
v_accvgpr_read_b32 v[vgprValuC+83], acc40 // copy acc to vreg[37]
v_accvgpr_read_b32 v[vgprValuC+85], acc44 // copy acc to vreg[38]
v_accvgpr_read_b32 v[vgprValuC+87], acc48 // copy acc to vreg[39]
v_accvgpr_read_b32 v[vgprValuC+89], acc52 // copy acc to vreg[40]
v_accvgpr_read_b32 v[vgprValuC+91], acc56 // copy acc to vreg[41]
v_accvgpr_read_b32 v[vgprValuC+93], acc60 // copy acc to vreg[42]
v_accvgpr_read_b32 v[vgprValuC+98], acc64 // copy acc to vreg[43]
v_accvgpr_read_b32 v[vgprValuC+100], acc68 // copy acc to vreg[44]
v_accvgpr_read_b32 v[vgprValuC+102], acc37 // copy acc to vreg[45]
v_accvgpr_read_b32 v[vgprValuC+104], acc41 // copy acc to vreg[46]
v_accvgpr_read_b32 v[vgprValuC+106], acc45 // copy acc to vreg[47]
v_accvgpr_read_b32 v[vgprValuC+108], acc49 // copy acc to vreg[48]
v_accvgpr_read_b32 v[vgprValuC+110], acc53 // copy acc to vreg[49]
v_accvgpr_read_b32 v[vgprValuC+112], acc57 // copy acc to vreg[50]
v_accvgpr_read_b32 v[vgprValuC+114], acc61 // copy acc to vreg[51]
v_accvgpr_read_b32 v[vgprValuC+116], acc65 // copy acc to vreg[52]
v_accvgpr_read_b32 v[vgprValuC+118], acc69 // copy acc to vreg[53]
v_accvgpr_read_b32 v[vgprValuC+120], acc38 // copy acc to vreg[54]
v_accvgpr_read_b32 v[vgprValuC+122], acc42 // copy acc to vreg[55]
v_accvgpr_read_b32 v[vgprValuC+124], acc46 // copy acc to vreg[56]
v_accvgpr_read_b32 v[vgprValuC+126], acc50 // copy acc to vreg[57]
v_accvgpr_read_b32 v[vgprValuC+128], acc54 // copy acc to vreg[58]
v_accvgpr_read_b32 v[vgprValuC+130], acc58 // copy acc to vreg[59]
v_accvgpr_read_b32 v[vgprValuC+132], acc62 // copy acc to vreg[60]
v_accvgpr_read_b32 v[vgprValuC+134], acc66 // copy acc to vreg[61]
v_accvgpr_read_b32 v[vgprValuC+136], acc70 // copy acc to vreg[62]
v_accvgpr_read_b32 v[vgprValuC+138], acc39 // copy acc to vreg[63]
v_accvgpr_read_b32 v[vgprValuC+140], acc43 // copy acc to vreg[64]
v_accvgpr_read_b32 v[vgprValuC+142], acc47 // copy acc to vreg[65]
v_accvgpr_read_b32 v[vgprValuC+144], acc51 // copy acc to vreg[66]
v_accvgpr_read_b32 v[vgprValuC+146], acc55 // copy acc to vreg[67]
v_accvgpr_read_b32 v[vgprValuC+148], acc59 // copy acc to vreg[68]
v_accvgpr_read_b32 v[vgprValuC+150], acc63 // copy acc to vreg[69]
v_accvgpr_read_b32 v[vgprValuC+152], acc67 // copy acc to vreg[70]
v_accvgpr_read_b32 v[vgprValuC+154], acc71 // copy acc to vreg[71]
v_accvgpr_read_b32 v[vgprValuC+156], acc72 // copy acc to vreg[72]
v_accvgpr_read_b32 v[vgprValuC+158], acc76 // copy acc to vreg[73]
v_accvgpr_read_b32 v[vgprValuC+160], acc80 // copy acc to vreg[74]
v_accvgpr_read_b32 v[vgprValuC+162], acc84 // copy acc to vreg[75]
v_accvgpr_read_b32 v[vgprValuC+164], acc88 // copy acc to vreg[76]
v_accvgpr_read_b32 v[vgprValuC+166], acc92 // copy acc to vreg[77]
v_accvgpr_read_b32 v[vgprValuC+168], acc96 // copy acc to vreg[78]
v_accvgpr_read_b32 v[vgprValuC+170], acc100 // copy acc to vreg[79]
v_accvgpr_read_b32 v[vgprValuC+172], acc104 // copy acc to vreg[80]
v_accvgpr_read_b32 v[vgprValuC+174], acc73 // copy acc to vreg[81]
v_accvgpr_read_b32 v[vgprValuC+176], acc77 // copy acc to vreg[82]
v_accvgpr_read_b32 v[vgprValuC+178], acc81 // copy acc to vreg[83]
v_accvgpr_read_b32 v[vgprValuC+180], acc85 // copy acc to vreg[84]
v_accvgpr_read_b32 v[vgprValuC+182], acc89 // copy acc to vreg[85]
v_accvgpr_read_b32 v[vgprValuC+184], acc93 // copy acc to vreg[86]
v_accvgpr_read_b32 v[vgprValuC+186], acc97 // copy acc to vreg[87]
v_accvgpr_read_b32 v[vgprValuC+188], acc101 // copy acc to vreg[88]
v_accvgpr_read_b32 v[vgprValuC+190], acc105 // copy acc to vreg[89]
v_accvgpr_read_b32 v[vgprValuC+192], acc74 // copy acc to vreg[90]
v_accvgpr_read_b32 v[vgprValuC+194], acc78 // copy acc to vreg[91]
v_accvgpr_read_b32 v[vgprValuC+196], acc82 // copy acc to vreg[92]
v_accvgpr_read_b32 v[vgprValuC+198], acc86 // copy acc to vreg[93]
v_accvgpr_read_b32 v[vgprValuC+200], acc90 // copy acc to vreg[94]
v_accvgpr_read_b32 v[vgprValuC+202], acc94 // copy acc to vreg[95]
v_accvgpr_read_b32 v[vgprValuC+204], acc98 // copy acc to vreg[96]
v_accvgpr_read_b32 v[vgprValuC+206], acc102 // copy acc to vreg[97]
v_accvgpr_read_b32 v[vgprValuC+208], acc106 // copy acc to vreg[98]
v_accvgpr_read_b32 v[vgprValuC+210], acc75 // copy acc to vreg[99]
v_accvgpr_read_b32 v[vgprValuC+212], acc79 // copy acc to vreg[100]
v_accvgpr_read_b32 v[vgprValuC+214], acc83 // copy acc to vreg[101]
v_accvgpr_read_b32 v[vgprValuC+216], acc87 // copy acc to vreg[102]
v_accvgpr_read_b32 v[vgprValuC+218], acc91 // copy acc to vreg[103]
v_accvgpr_read_b32 v[vgprValuC+220], acc95 // copy acc to vreg[104]
v_accvgpr_read_b32 v[vgprValuC+222], acc99 // copy acc to vreg[105]
v_accvgpr_read_b32 v[vgprValuC+224], acc103 // copy acc to vreg[106]
v_accvgpr_read_b32 v[vgprValuC+226], acc107 // copy acc to vreg[107]
s_nop 1                                            // 2 wait states required before reading vgpr

/* rC *= alpha batchElements=[(0, 0, 0, 0), (0, 1, 0, 0), (0, 2, 0, 0), (0, 3, 0, 0), (0, 4, 0, 0), (0, 5, 0, 0), (0, 6, 0, 0), (0, 7, 0, 0), (0, 8, 0, 0), (0, 0, 1, 0), (0, 1, 1, 0), (0, 2, 1, 0), (0, 3, 1, 0), (0, 4, 1, 0), (0, 5, 1, 0), (0, 6, 1, 0), (0, 7, 1, 0), (0, 8, 1, 0), (0, 0, 2, 0), (0, 1, 2, 0), (0, 2, 2, 0), (0, 3, 2, 0), (0, 4, 2, 0), (0, 5, 2, 0), (0, 6, 2, 0), (0, 7, 2, 0), (0, 8, 2, 0), (0, 0, 3, 0), (0, 1, 3, 0), (0, 2, 3, 0), (0, 3, 3, 0), (0, 4, 3, 0), (0, 5, 3, 0), (0, 6, 3, 0), (0, 7, 3, 0), (0, 8, 3, 0), (1, 0, 0, 0), (1, 1, 0, 0), (1, 2, 0, 0), (1, 3, 0, 0), (1, 4, 0, 0), (1, 5, 0, 0), (1, 6, 0, 0), (1, 7, 0, 0), (1, 8, 0, 0), (1, 0, 1, 0), (1, 1, 1, 0), (1, 2, 1, 0), (1, 3, 1, 0), (1, 4, 1, 0), (1, 5, 1, 0), (1, 6, 1, 0), (1, 7, 1, 0), (1, 8, 1, 0), (1, 0, 2, 0), (1, 1, 2, 0), (1, 2, 2, 0), (1, 3, 2, 0), (1, 4, 2, 0), (1, 5, 2, 0), (1, 6, 2, 0), (1, 7, 2, 0), (1, 8, 2, 0), (1, 0, 3, 0), (1, 1, 3, 0), (1, 2, 3, 0), (1, 3, 3, 0), (1, 4, 3, 0), (1, 5, 3, 0), (1, 6, 3, 0), (1, 7, 3, 0), (1, 8, 3, 0), (2, 0, 0, 0), (2, 1, 0, 0), (2, 2, 0, 0), (2, 3, 0, 0), (2, 4, 0, 0), (2, 5, 0, 0), (2, 6, 0, 0), (2, 7, 0, 0), (2, 8, 0, 0), (2, 0, 1, 0), (2, 1, 1, 0), (2, 2, 1, 0), (2, 3, 1, 0), (2, 4, 1, 0), (2, 5, 1, 0), (2, 6, 1, 0), (2, 7, 1, 0), (2, 8, 1, 0), (2, 0, 2, 0), (2, 1, 2, 0), (2, 2, 2, 0), (2, 3, 2, 0), (2, 4, 2, 0), (2, 5, 2, 0), (2, 6, 2, 0), (2, 7, 2, 0), (2, 8, 2, 0), (2, 0, 3, 0), (2, 1, 3, 0), (2, 2, 3, 0), (2, 3, 3, 0), (2, 4, 3, 0), (2, 5, 3, 0), (2, 6, 3, 0), (2, 7, 3, 0), (2, 8, 3, 0)] */
v_mul_f32 v[vgprValuC+9], s[sgprAlpha], v[vgprValuC+9] // *= alpha
v_mul_f32 v[vgprValuC+11], s[sgprAlpha], v[vgprValuC+11] // *= alpha
	;; [unrolled: 1-line block ×108, first 2 shown]

/* apply mask, calc new C and issue writes */

s_waitcnt vmcnt(63)                                // wait C (interleaved) 107 = 108 - 0 + 0 - 1
v_fma_mix_f32 v[vgprValuC+9], s[sgprBeta], v8, v[vgprValuC+9], op_sel:[0,0,0] op_sel_hi:[0,1,0] // //C*=beta
v_cvt_f16_f32 v[vgprValuC+9], v[vgprValuC+9]       // convert C to fp16
_buffer_store_b16 v9, v6, s[sgprSrdD:sgprSrdD+3], 0, offen, offset:0 // store D

s_waitcnt vmcnt(63)                                // wait C (interleaved) 107 = 108 - 1 + 1 - 1
v_fma_mix_f32 v[vgprValuC+11], s[sgprBeta], v10, v[vgprValuC+11], op_sel:[0,0,0] op_sel_hi:[0,1,0] // //C*=beta
v_cvt_f16_f32 v[vgprValuC+11], v[vgprValuC+11]     // convert C to fp16
_buffer_store_b16 v11, v6, s[sgprSrdD:sgprSrdD+3], 0, offen, offset:32 // store D

s_waitcnt vmcnt(63)                                // wait C (interleaved) 107 = 108 - 2 + 2 - 1
v_fma_mix_f32 v[vgprValuC+13], s[sgprBeta], v12, v[vgprValuC+13], op_sel:[0,0,0] op_sel_hi:[0,1,0] // //C*=beta
v_cvt_f16_f32 v[vgprValuC+13], v[vgprValuC+13]     // convert C to fp16
_buffer_store_b16 v13, v6, s[sgprSrdD:sgprSrdD+3], 0, offen, offset:64 // store D

s_waitcnt vmcnt(63)                                // wait C (interleaved) 107 = 108 - 3 + 3 - 1
v_fma_mix_f32 v[vgprValuC+15], s[sgprBeta], v14, v[vgprValuC+15], op_sel:[0,0,0] op_sel_hi:[0,1,0] // //C*=beta
v_cvt_f16_f32 v[vgprValuC+15], v[vgprValuC+15]     // convert C to fp16
_buffer_store_b16 v15, v6, s[sgprSrdD:sgprSrdD+3], 0, offen, offset:96 // store D

s_waitcnt vmcnt(63)                                // wait C (interleaved) 107 = 108 - 4 + 4 - 1
v_fma_mix_f32 v[vgprValuC+17], s[sgprBeta], v16, v[vgprValuC+17], op_sel:[0,0,0] op_sel_hi:[0,1,0] // //C*=beta
v_cvt_f16_f32 v[vgprValuC+17], v[vgprValuC+17]     // convert C to fp16
_buffer_store_b16 v17, v6, s[sgprSrdD:sgprSrdD+3], 0, offen, offset:128 // store D

s_waitcnt vmcnt(63)                                // wait C (interleaved) 107 = 108 - 5 + 5 - 1
v_fma_mix_f32 v[vgprValuC+19], s[sgprBeta], v18, v[vgprValuC+19], op_sel:[0,0,0] op_sel_hi:[0,1,0] // //C*=beta
v_cvt_f16_f32 v[vgprValuC+19], v[vgprValuC+19]     // convert C to fp16
_buffer_store_b16 v19, v6, s[sgprSrdD:sgprSrdD+3], 0, offen, offset:160 // store D

s_waitcnt vmcnt(63)                                // wait C (interleaved) 107 = 108 - 6 + 6 - 1
v_fma_mix_f32 v[vgprValuC+21], s[sgprBeta], v20, v[vgprValuC+21], op_sel:[0,0,0] op_sel_hi:[0,1,0] // //C*=beta
v_cvt_f16_f32 v[vgprValuC+21], v[vgprValuC+21]     // convert C to fp16
_buffer_store_b16 v21, v6, s[sgprSrdD:sgprSrdD+3], 0, offen, offset:192 // store D

s_waitcnt vmcnt(63)                                // wait C (interleaved) 107 = 108 - 7 + 7 - 1
v_fma_mix_f32 v[vgprValuC+23], s[sgprBeta], v22, v[vgprValuC+23], op_sel:[0,0,0] op_sel_hi:[0,1,0] // //C*=beta
v_cvt_f16_f32 v[vgprValuC+23], v[vgprValuC+23]     // convert C to fp16
_buffer_store_b16 v23, v6, s[sgprSrdD:sgprSrdD+3], 0, offen, offset:224 // store D

s_waitcnt vmcnt(63)                                // wait C (interleaved) 107 = 108 - 8 + 8 - 1
v_fma_mix_f32 v[vgprValuC+25], s[sgprBeta], v24, v[vgprValuC+25], op_sel:[0,0,0] op_sel_hi:[0,1,0] // //C*=beta
v_cvt_f16_f32 v[vgprValuC+25], v[vgprValuC+25]     // convert C to fp16
_buffer_store_b16 v25, v6, s[sgprSrdD:sgprSrdD+3], 0, offen, offset:256 // store D

s_waitcnt vmcnt(63)                                // wait C (interleaved) 107 = 108 - 9 + 9 - 1
v_fma_mix_f32 v[vgprValuC+27], s[sgprBeta], v26, v[vgprValuC+27], op_sel:[0,0,0] op_sel_hi:[0,1,0] // //C*=beta
v_cvt_f16_f32 v[vgprValuC+27], v[vgprValuC+27]     // convert C to fp16
s_lshl_b32  s52, s[sgprStrideD1J], 1               // incToNextRow: Scale by BPE
s_add_u32  s[sgprSrdD+0], s[sgprSrdD+0], s52       // incToNextRow: gra SRD += inc(lower)
s_addc_u32  s[sgprSrdD+1], s[sgprSrdD+1], 0        // incToNextRow: gra SRD += inc(upper)
_buffer_store_b16 v27, v6, s[sgprSrdD:sgprSrdD+3], 0, offen, offset:0 // store D

s_waitcnt vmcnt(63)                                // wait C (interleaved) 107 = 108 - 10 + 10 - 1
v_fma_mix_f32 v[vgprValuC+29], s[sgprBeta], v28, v[vgprValuC+29], op_sel:[0,0,0] op_sel_hi:[0,1,0] // //C*=beta
v_cvt_f16_f32 v[vgprValuC+29], v[vgprValuC+29]     // convert C to fp16
_buffer_store_b16 v29, v6, s[sgprSrdD:sgprSrdD+3], 0, offen, offset:32 // store D

s_waitcnt vmcnt(63)                                // wait C (interleaved) 107 = 108 - 11 + 11 - 1
v_fma_mix_f32 v[vgprValuC+31], s[sgprBeta], v30, v[vgprValuC+31], op_sel:[0,0,0] op_sel_hi:[0,1,0] // //C*=beta
v_cvt_f16_f32 v[vgprValuC+31], v[vgprValuC+31]     // convert C to fp16
_buffer_store_b16 v31, v6, s[sgprSrdD:sgprSrdD+3], 0, offen, offset:64 // store D

s_waitcnt vmcnt(63)                                // wait C (interleaved) 107 = 108 - 12 + 12 - 1
v_fma_mix_f32 v[vgprValuC+33], s[sgprBeta], v32, v[vgprValuC+33], op_sel:[0,0,0] op_sel_hi:[0,1,0] // //C*=beta
v_cvt_f16_f32 v[vgprValuC+33], v[vgprValuC+33]     // convert C to fp16
_buffer_store_b16 v33, v6, s[sgprSrdD:sgprSrdD+3], 0, offen, offset:96 // store D

s_waitcnt vmcnt(63)                                // wait C (interleaved) 107 = 108 - 13 + 13 - 1
v_fma_mix_f32 v[vgprValuC+35], s[sgprBeta], v34, v[vgprValuC+35], op_sel:[0,0,0] op_sel_hi:[0,1,0] // //C*=beta
v_cvt_f16_f32 v[vgprValuC+35], v[vgprValuC+35]     // convert C to fp16
_buffer_store_b16 v35, v6, s[sgprSrdD:sgprSrdD+3], 0, offen, offset:128 // store D

s_waitcnt vmcnt(63)                                // wait C (interleaved) 107 = 108 - 14 + 14 - 1
v_fma_mix_f32 v[vgprValuC+37], s[sgprBeta], v36, v[vgprValuC+37], op_sel:[0,0,0] op_sel_hi:[0,1,0] // //C*=beta
v_cvt_f16_f32 v[vgprValuC+37], v[vgprValuC+37]     // convert C to fp16
_buffer_store_b16 v37, v6, s[sgprSrdD:sgprSrdD+3], 0, offen, offset:160 // store D

s_waitcnt vmcnt(63)                                // wait C (interleaved) 107 = 108 - 15 + 15 - 1
v_fma_mix_f32 v[vgprValuC+39], s[sgprBeta], v38, v[vgprValuC+39], op_sel:[0,0,0] op_sel_hi:[0,1,0] // //C*=beta
v_cvt_f16_f32 v[vgprValuC+39], v[vgprValuC+39]     // convert C to fp16
_buffer_store_b16 v39, v6, s[sgprSrdD:sgprSrdD+3], 0, offen, offset:192 // store D

s_waitcnt vmcnt(63)                                // wait C (interleaved) 107 = 108 - 16 + 16 - 1
v_fma_mix_f32 v[vgprValuC+41], s[sgprBeta], v40, v[vgprValuC+41], op_sel:[0,0,0] op_sel_hi:[0,1,0] // //C*=beta
v_cvt_f16_f32 v[vgprValuC+41], v[vgprValuC+41]     // convert C to fp16
_buffer_store_b16 v41, v6, s[sgprSrdD:sgprSrdD+3], 0, offen, offset:224 // store D

s_waitcnt vmcnt(63)                                // wait C (interleaved) 107 = 108 - 17 + 17 - 1
v_fma_mix_f32 v[vgprValuC+43], s[sgprBeta], v42, v[vgprValuC+43], op_sel:[0,0,0] op_sel_hi:[0,1,0] // //C*=beta
v_cvt_f16_f32 v[vgprValuC+43], v[vgprValuC+43]     // convert C to fp16
_buffer_store_b16 v43, v6, s[sgprSrdD:sgprSrdD+3], 0, offen, offset:256 // store D

s_waitcnt vmcnt(63)                                // wait C (interleaved) 107 = 108 - 18 + 18 - 1
v_fma_mix_f32 v[vgprValuC+45], s[sgprBeta], v44, v[vgprValuC+45], op_sel:[0,0,0] op_sel_hi:[0,1,0] // //C*=beta
v_cvt_f16_f32 v[vgprValuC+45], v[vgprValuC+45]     // convert C to fp16
s_lshl_b32  s52, s[sgprStrideD1J], 1               // incToNextRow: Scale by BPE
s_add_u32  s[sgprSrdD+0], s[sgprSrdD+0], s52       // incToNextRow: gra SRD += inc(lower)
s_addc_u32  s[sgprSrdD+1], s[sgprSrdD+1], 0        // incToNextRow: gra SRD += inc(upper)
	;; [unrolled: 48-line block ×3, first 2 shown]
_buffer_store_b16 v63, v6, s[sgprSrdD:sgprSrdD+3], 0, offen, offset:0 // store D

s_waitcnt vmcnt(63)                                // wait C (interleaved) 107 = 108 - 28 + 28 - 1
v_fma_mix_f32 v[vgprValuC+65], s[sgprBeta], v64, v[vgprValuC+65], op_sel:[0,0,0] op_sel_hi:[0,1,0] // //C*=beta
v_cvt_f16_f32 v[vgprValuC+65], v[vgprValuC+65]     // convert C to fp16
_buffer_store_b16 v65, v6, s[sgprSrdD:sgprSrdD+3], 0, offen, offset:32 // store D

s_waitcnt vmcnt(63)                                // wait C (interleaved) 107 = 108 - 29 + 29 - 1
v_fma_mix_f32 v[vgprValuC+67], s[sgprBeta], v66, v[vgprValuC+67], op_sel:[0,0,0] op_sel_hi:[0,1,0] // //C*=beta
v_cvt_f16_f32 v[vgprValuC+67], v[vgprValuC+67]     // convert C to fp16
	;; [unrolled: 5-line block ×9, first 2 shown]
s_mul_i32 s52, s[sgprStrideD1J], 122               // scale StrideD *= numRows(61) * bpe
s_add_u32  s[sgprSrdD+0], s[sgprSrdD+0], s52       // incToNextRow: gra SRD += inc(lower)
s_addc_u32  s[sgprSrdD+1], s[sgprSrdD+1], 0        // incToNextRow: gra SRD += inc(upper)
_buffer_store_b16 v81, v6, s[sgprSrdD:sgprSrdD+3], 0, offen, offset:0 // store D

s_waitcnt vmcnt(63)                                // wait C (interleaved) 107 = 108 - 37 + 37 - 1
v_fma_mix_f32 v[vgprValuC+83], s[sgprBeta], v82, v[vgprValuC+83], op_sel:[0,0,0] op_sel_hi:[0,1,0] // //C*=beta
v_cvt_f16_f32 v[vgprValuC+83], v[vgprValuC+83]     // convert C to fp16
_buffer_store_b16 v83, v6, s[sgprSrdD:sgprSrdD+3], 0, offen, offset:32 // store D

s_waitcnt vmcnt(63)                                // wait C (interleaved) 107 = 108 - 38 + 38 - 1
v_fma_mix_f32 v[vgprValuC+85], s[sgprBeta], v84, v[vgprValuC+85], op_sel:[0,0,0] op_sel_hi:[0,1,0] // //C*=beta
v_cvt_f16_f32 v[vgprValuC+85], v[vgprValuC+85]     // convert C to fp16
	;; [unrolled: 5-line block ×7, first 2 shown]
_buffer_store_b16 v98, v6, s[sgprSrdD:sgprSrdD+3], 0, offen, offset:224 // store D

s_waitcnt vmcnt(63)                                // wait C (interleaved) 107 = 108 - 44 + 44 - 1
v_fma_mix_f32 v[vgprValuC+100], s[sgprBeta], v99, v[vgprValuC+100], op_sel:[0,0,0] op_sel_hi:[0,1,0] // //C*=beta
v_cvt_f16_f32 v[vgprValuC+100], v[vgprValuC+100]   // convert C to fp16
_buffer_store_b16 v100, v6, s[sgprSrdD:sgprSrdD+3], 0, offen, offset:256 // store D

s_waitcnt vmcnt(63)                                // wait C (interleaved) 107 = 108 - 45 + 45 - 1
v_fma_mix_f32 v[vgprValuC+102], s[sgprBeta], v101, v[vgprValuC+102], op_sel:[0,0,0] op_sel_hi:[0,1,0] // //C*=beta
v_cvt_f16_f32 v[vgprValuC+102], v[vgprValuC+102]   // convert C to fp16
s_lshl_b32  s52, s[sgprStrideD1J], 1               // incToNextRow: Scale by BPE
s_add_u32  s[sgprSrdD+0], s[sgprSrdD+0], s52       // incToNextRow: gra SRD += inc(lower)
s_addc_u32  s[sgprSrdD+1], s[sgprSrdD+1], 0        // incToNextRow: gra SRD += inc(upper)
_buffer_store_b16 v102, v6, s[sgprSrdD:sgprSrdD+3], 0, offen, offset:0 // store D

s_waitcnt vmcnt(63)                                // wait C (interleaved) 107 = 108 - 46 + 46 - 1
v_fma_mix_f32 v[vgprValuC+104], s[sgprBeta], v103, v[vgprValuC+104], op_sel:[0,0,0] op_sel_hi:[0,1,0] // //C*=beta
v_cvt_f16_f32 v[vgprValuC+104], v[vgprValuC+104]   // convert C to fp16
_buffer_store_b16 v104, v6, s[sgprSrdD:sgprSrdD+3], 0, offen, offset:32 // store D

s_waitcnt vmcnt(63)                                // wait C (interleaved) 107 = 108 - 47 + 47 - 1
v_fma_mix_f32 v[vgprValuC+106], s[sgprBeta], v105, v[vgprValuC+106], op_sel:[0,0,0] op_sel_hi:[0,1,0] // //C*=beta
v_cvt_f16_f32 v[vgprValuC+106], v[vgprValuC+106]   // convert C to fp16
_buffer_store_b16 v106, v6, s[sgprSrdD:sgprSrdD+3], 0, offen, offset:64 // store D

s_waitcnt vmcnt(63)                                // wait C (interleaved) 107 = 108 - 48 + 48 - 1
v_fma_mix_f32 v[vgprValuC+108], s[sgprBeta], v107, v[vgprValuC+108], op_sel:[0,0,0] op_sel_hi:[0,1,0] // //C*=beta
v_cvt_f16_f32 v[vgprValuC+108], v[vgprValuC+108]   // convert C to fp16
_buffer_store_b16 v108, v6, s[sgprSrdD:sgprSrdD+3], 0, offen, offset:96 // store D

s_waitcnt vmcnt(63)                                // wait C (interleaved) 107 = 108 - 49 + 49 - 1
v_fma_mix_f32 v[vgprValuC+110], s[sgprBeta], v109, v[vgprValuC+110], op_sel:[0,0,0] op_sel_hi:[0,1,0] // //C*=beta
v_cvt_f16_f32 v[vgprValuC+110], v[vgprValuC+110]   // convert C to fp16
_buffer_store_b16 v110, v6, s[sgprSrdD:sgprSrdD+3], 0, offen, offset:128 // store D

s_waitcnt vmcnt(63)                                // wait C (interleaved) 107 = 108 - 50 + 50 - 1
v_fma_mix_f32 v[vgprValuC+112], s[sgprBeta], v111, v[vgprValuC+112], op_sel:[0,0,0] op_sel_hi:[0,1,0] // //C*=beta
v_cvt_f16_f32 v[vgprValuC+112], v[vgprValuC+112]   // convert C to fp16
_buffer_store_b16 v112, v6, s[sgprSrdD:sgprSrdD+3], 0, offen, offset:160 // store D

s_waitcnt vmcnt(63)                                // wait C (interleaved) 107 = 108 - 51 + 51 - 1
v_fma_mix_f32 v[vgprValuC+114], s[sgprBeta], v113, v[vgprValuC+114], op_sel:[0,0,0] op_sel_hi:[0,1,0] // //C*=beta
v_cvt_f16_f32 v[vgprValuC+114], v[vgprValuC+114]   // convert C to fp16
_buffer_store_b16 v114, v6, s[sgprSrdD:sgprSrdD+3], 0, offen, offset:192 // store D

s_waitcnt vmcnt(63)                                // wait C (interleaved) 107 = 108 - 52 + 52 - 1
v_fma_mix_f32 v[vgprValuC+116], s[sgprBeta], v115, v[vgprValuC+116], op_sel:[0,0,0] op_sel_hi:[0,1,0] // //C*=beta
v_cvt_f16_f32 v[vgprValuC+116], v[vgprValuC+116]   // convert C to fp16
_buffer_store_b16 v116, v6, s[sgprSrdD:sgprSrdD+3], 0, offen, offset:224 // store D

s_waitcnt vmcnt(63)                                // wait C (interleaved) 107 = 108 - 53 + 53 - 1
v_fma_mix_f32 v[vgprValuC+118], s[sgprBeta], v117, v[vgprValuC+118], op_sel:[0,0,0] op_sel_hi:[0,1,0] // //C*=beta
v_cvt_f16_f32 v[vgprValuC+118], v[vgprValuC+118]   // convert C to fp16
_buffer_store_b16 v118, v6, s[sgprSrdD:sgprSrdD+3], 0, offen, offset:256 // store D

s_waitcnt vmcnt(63)                                // wait C (interleaved) 107 = 108 - 54 + 54 - 1
v_fma_mix_f32 v[vgprValuC+120], s[sgprBeta], v119, v[vgprValuC+120], op_sel:[0,0,0] op_sel_hi:[0,1,0] // //C*=beta
v_cvt_f16_f32 v[vgprValuC+120], v[vgprValuC+120]   // convert C to fp16
s_lshl_b32  s52, s[sgprStrideD1J], 1               // incToNextRow: Scale by BPE
s_add_u32  s[sgprSrdD+0], s[sgprSrdD+0], s52       // incToNextRow: gra SRD += inc(lower)
s_addc_u32  s[sgprSrdD+1], s[sgprSrdD+1], 0        // incToNextRow: gra SRD += inc(upper)
_buffer_store_b16 v120, v6, s[sgprSrdD:sgprSrdD+3], 0, offen, offset:0 // store D

s_waitcnt vmcnt(63)                                // wait C (interleaved) 107 = 108 - 55 + 55 - 1
v_fma_mix_f32 v[vgprValuC+122], s[sgprBeta], v121, v[vgprValuC+122], op_sel:[0,0,0] op_sel_hi:[0,1,0] // //C*=beta
v_cvt_f16_f32 v[vgprValuC+122], v[vgprValuC+122]   // convert C to fp16
_buffer_store_b16 v122, v6, s[sgprSrdD:sgprSrdD+3], 0, offen, offset:32 // store D

s_waitcnt vmcnt(63)                                // wait C (interleaved) 107 = 108 - 56 + 56 - 1
v_fma_mix_f32 v[vgprValuC+124], s[sgprBeta], v123, v[vgprValuC+124], op_sel:[0,0,0] op_sel_hi:[0,1,0] // //C*=beta
v_cvt_f16_f32 v[vgprValuC+124], v[vgprValuC+124]   // convert C to fp16
_buffer_store_b16 v124, v6, s[sgprSrdD:sgprSrdD+3], 0, offen, offset:64 // store D

s_waitcnt vmcnt(63)                                // wait C (interleaved) 107 = 108 - 57 + 57 - 1
v_fma_mix_f32 v[vgprValuC+126], s[sgprBeta], v125, v[vgprValuC+126], op_sel:[0,0,0] op_sel_hi:[0,1,0] // //C*=beta
v_cvt_f16_f32 v[vgprValuC+126], v[vgprValuC+126]   // convert C to fp16
_buffer_store_b16 v126, v6, s[sgprSrdD:sgprSrdD+3], 0, offen, offset:96 // store D

s_waitcnt vmcnt(63)                                // wait C (interleaved) 107 = 108 - 58 + 58 - 1
v_fma_mix_f32 v[vgprValuC+128], s[sgprBeta], v127, v[vgprValuC+128], op_sel:[0,0,0] op_sel_hi:[0,1,0] // //C*=beta
v_cvt_f16_f32 v[vgprValuC+128], v[vgprValuC+128]   // convert C to fp16
_buffer_store_b16 v128, v6, s[sgprSrdD:sgprSrdD+3], 0, offen, offset:128 // store D

s_waitcnt vmcnt(63)                                // wait C (interleaved) 107 = 108 - 59 + 59 - 1
v_fma_mix_f32 v[vgprValuC+130], s[sgprBeta], v129, v[vgprValuC+130], op_sel:[0,0,0] op_sel_hi:[0,1,0] // //C*=beta
v_cvt_f16_f32 v[vgprValuC+130], v[vgprValuC+130]   // convert C to fp16
_buffer_store_b16 v130, v6, s[sgprSrdD:sgprSrdD+3], 0, offen, offset:160 // store D

s_waitcnt vmcnt(63)                                // wait C (interleaved) 107 = 108 - 60 + 60 - 1
v_fma_mix_f32 v[vgprValuC+132], s[sgprBeta], v131, v[vgprValuC+132], op_sel:[0,0,0] op_sel_hi:[0,1,0] // //C*=beta
v_cvt_f16_f32 v[vgprValuC+132], v[vgprValuC+132]   // convert C to fp16
_buffer_store_b16 v132, v6, s[sgprSrdD:sgprSrdD+3], 0, offen, offset:192 // store D

s_waitcnt vmcnt(63)                                // wait C (interleaved) 107 = 108 - 61 + 61 - 1
v_fma_mix_f32 v[vgprValuC+134], s[sgprBeta], v133, v[vgprValuC+134], op_sel:[0,0,0] op_sel_hi:[0,1,0] // //C*=beta
v_cvt_f16_f32 v[vgprValuC+134], v[vgprValuC+134]   // convert C to fp16
	;; [unrolled: 48-line block ×3, first 2 shown]
_buffer_store_b16 v152, v6, s[sgprSrdD:sgprSrdD+3], 0, offen, offset:224 // store D

s_waitcnt vmcnt(63)                                // wait C (interleaved) 107 = 108 - 71 + 71 - 1
v_fma_mix_f32 v[vgprValuC+154], s[sgprBeta], v153, v[vgprValuC+154], op_sel:[0,0,0] op_sel_hi:[0,1,0] // //C*=beta
v_cvt_f16_f32 v[vgprValuC+154], v[vgprValuC+154]   // convert C to fp16
_buffer_store_b16 v154, v6, s[sgprSrdD:sgprSrdD+3], 0, offen, offset:256 // store D

s_waitcnt vmcnt(63)                                // wait C (interleaved) 107 = 108 - 72 + 72 - 1
v_fma_mix_f32 v[vgprValuC+156], s[sgprBeta], v155, v[vgprValuC+156], op_sel:[0,0,0] op_sel_hi:[0,1,0] // //C*=beta
v_cvt_f16_f32 v[vgprValuC+156], v[vgprValuC+156]   // convert C to fp16
s_mul_i32 s52, s[sgprStrideD1J], 122               // scale StrideD *= numRows(61) * bpe
s_add_u32  s[sgprSrdD+0], s[sgprSrdD+0], s52       // incToNextRow: gra SRD += inc(lower)
s_addc_u32  s[sgprSrdD+1], s[sgprSrdD+1], 0        // incToNextRow: gra SRD += inc(upper)
_buffer_store_b16 v156, v6, s[sgprSrdD:sgprSrdD+3], 0, offen, offset:0 // store D

s_waitcnt vmcnt(63)                                // wait C (interleaved) 107 = 108 - 73 + 73 - 1
v_fma_mix_f32 v[vgprValuC+158], s[sgprBeta], v157, v[vgprValuC+158], op_sel:[0,0,0] op_sel_hi:[0,1,0] // //C*=beta
v_cvt_f16_f32 v[vgprValuC+158], v[vgprValuC+158]   // convert C to fp16
_buffer_store_b16 v158, v6, s[sgprSrdD:sgprSrdD+3], 0, offen, offset:32 // store D

s_waitcnt vmcnt(63)                                // wait C (interleaved) 107 = 108 - 74 + 74 - 1
v_fma_mix_f32 v[vgprValuC+160], s[sgprBeta], v159, v[vgprValuC+160], op_sel:[0,0,0] op_sel_hi:[0,1,0] // //C*=beta
v_cvt_f16_f32 v[vgprValuC+160], v[vgprValuC+160]   // convert C to fp16
_buffer_store_b16 v160, v6, s[sgprSrdD:sgprSrdD+3], 0, offen, offset:64 // store D

s_waitcnt vmcnt(63)                                // wait C (interleaved) 107 = 108 - 75 + 75 - 1
v_fma_mix_f32 v[vgprValuC+162], s[sgprBeta], v161, v[vgprValuC+162], op_sel:[0,0,0] op_sel_hi:[0,1,0] // //C*=beta
v_cvt_f16_f32 v[vgprValuC+162], v[vgprValuC+162]   // convert C to fp16
_buffer_store_b16 v162, v6, s[sgprSrdD:sgprSrdD+3], 0, offen, offset:96 // store D

s_waitcnt vmcnt(63)                                // wait C (interleaved) 107 = 108 - 76 + 76 - 1
v_fma_mix_f32 v[vgprValuC+164], s[sgprBeta], v163, v[vgprValuC+164], op_sel:[0,0,0] op_sel_hi:[0,1,0] // //C*=beta
v_cvt_f16_f32 v[vgprValuC+164], v[vgprValuC+164]   // convert C to fp16
_buffer_store_b16 v164, v6, s[sgprSrdD:sgprSrdD+3], 0, offen, offset:128 // store D

s_waitcnt vmcnt(63)                                // wait C (interleaved) 107 = 108 - 77 + 77 - 1
v_fma_mix_f32 v[vgprValuC+166], s[sgprBeta], v165, v[vgprValuC+166], op_sel:[0,0,0] op_sel_hi:[0,1,0] // //C*=beta
v_cvt_f16_f32 v[vgprValuC+166], v[vgprValuC+166]   // convert C to fp16
_buffer_store_b16 v166, v6, s[sgprSrdD:sgprSrdD+3], 0, offen, offset:160 // store D

s_waitcnt vmcnt(63)                                // wait C (interleaved) 107 = 108 - 78 + 78 - 1
v_fma_mix_f32 v[vgprValuC+168], s[sgprBeta], v167, v[vgprValuC+168], op_sel:[0,0,0] op_sel_hi:[0,1,0] // //C*=beta
v_cvt_f16_f32 v[vgprValuC+168], v[vgprValuC+168]   // convert C to fp16
_buffer_store_b16 v168, v6, s[sgprSrdD:sgprSrdD+3], 0, offen, offset:192 // store D

s_waitcnt vmcnt(63)                                // wait C (interleaved) 107 = 108 - 79 + 79 - 1
v_fma_mix_f32 v[vgprValuC+170], s[sgprBeta], v169, v[vgprValuC+170], op_sel:[0,0,0] op_sel_hi:[0,1,0] // //C*=beta
v_cvt_f16_f32 v[vgprValuC+170], v[vgprValuC+170]   // convert C to fp16
_buffer_store_b16 v170, v6, s[sgprSrdD:sgprSrdD+3], 0, offen, offset:224 // store D

s_waitcnt vmcnt(63)                                // wait C (interleaved) 107 = 108 - 80 + 80 - 1
v_fma_mix_f32 v[vgprValuC+172], s[sgprBeta], v171, v[vgprValuC+172], op_sel:[0,0,0] op_sel_hi:[0,1,0] // //C*=beta
v_cvt_f16_f32 v[vgprValuC+172], v[vgprValuC+172]   // convert C to fp16
_buffer_store_b16 v172, v6, s[sgprSrdD:sgprSrdD+3], 0, offen, offset:256 // store D

s_waitcnt vmcnt(63)                                // wait C (interleaved) 107 = 108 - 81 + 81 - 1
v_fma_mix_f32 v[vgprValuC+174], s[sgprBeta], v173, v[vgprValuC+174], op_sel:[0,0,0] op_sel_hi:[0,1,0] // //C*=beta
v_cvt_f16_f32 v[vgprValuC+174], v[vgprValuC+174]   // convert C to fp16
s_lshl_b32  s52, s[sgprStrideD1J], 1               // incToNextRow: Scale by BPE
s_add_u32  s[sgprSrdD+0], s[sgprSrdD+0], s52       // incToNextRow: gra SRD += inc(lower)
s_addc_u32  s[sgprSrdD+1], s[sgprSrdD+1], 0        // incToNextRow: gra SRD += inc(upper)
_buffer_store_b16 v174, v6, s[sgprSrdD:sgprSrdD+3], 0, offen, offset:0 // store D

s_waitcnt vmcnt(63)                                // wait C (interleaved) 107 = 108 - 82 + 82 - 1
v_fma_mix_f32 v[vgprValuC+176], s[sgprBeta], v175, v[vgprValuC+176], op_sel:[0,0,0] op_sel_hi:[0,1,0] // //C*=beta
v_cvt_f16_f32 v[vgprValuC+176], v[vgprValuC+176]   // convert C to fp16
_buffer_store_b16 v176, v6, s[sgprSrdD:sgprSrdD+3], 0, offen, offset:32 // store D

s_waitcnt vmcnt(63)                                // wait C (interleaved) 107 = 108 - 83 + 83 - 1
v_fma_mix_f32 v[vgprValuC+178], s[sgprBeta], v177, v[vgprValuC+178], op_sel:[0,0,0] op_sel_hi:[0,1,0] // //C*=beta
v_cvt_f16_f32 v[vgprValuC+178], v[vgprValuC+178]   // convert C to fp16
_buffer_store_b16 v178, v6, s[sgprSrdD:sgprSrdD+3], 0, offen, offset:64 // store D

s_waitcnt vmcnt(63)                                // wait C (interleaved) 107 = 108 - 84 + 84 - 1
v_fma_mix_f32 v[vgprValuC+180], s[sgprBeta], v179, v[vgprValuC+180], op_sel:[0,0,0] op_sel_hi:[0,1,0] // //C*=beta
v_cvt_f16_f32 v[vgprValuC+180], v[vgprValuC+180]   // convert C to fp16
_buffer_store_b16 v180, v6, s[sgprSrdD:sgprSrdD+3], 0, offen, offset:96 // store D

s_waitcnt vmcnt(63)                                // wait C (interleaved) 107 = 108 - 85 + 85 - 1
v_fma_mix_f32 v[vgprValuC+182], s[sgprBeta], v181, v[vgprValuC+182], op_sel:[0,0,0] op_sel_hi:[0,1,0] // //C*=beta
v_cvt_f16_f32 v[vgprValuC+182], v[vgprValuC+182]   // convert C to fp16
_buffer_store_b16 v182, v6, s[sgprSrdD:sgprSrdD+3], 0, offen, offset:128 // store D

s_waitcnt vmcnt(63)                                // wait C (interleaved) 107 = 108 - 86 + 86 - 1
v_fma_mix_f32 v[vgprValuC+184], s[sgprBeta], v183, v[vgprValuC+184], op_sel:[0,0,0] op_sel_hi:[0,1,0] // //C*=beta
v_cvt_f16_f32 v[vgprValuC+184], v[vgprValuC+184]   // convert C to fp16
_buffer_store_b16 v184, v6, s[sgprSrdD:sgprSrdD+3], 0, offen, offset:160 // store D

s_waitcnt vmcnt(63)                                // wait C (interleaved) 107 = 108 - 87 + 87 - 1
v_fma_mix_f32 v[vgprValuC+186], s[sgprBeta], v185, v[vgprValuC+186], op_sel:[0,0,0] op_sel_hi:[0,1,0] // //C*=beta
v_cvt_f16_f32 v[vgprValuC+186], v[vgprValuC+186]   // convert C to fp16
_buffer_store_b16 v186, v6, s[sgprSrdD:sgprSrdD+3], 0, offen, offset:192 // store D

s_waitcnt vmcnt(63)                                // wait C (interleaved) 107 = 108 - 88 + 88 - 1
v_fma_mix_f32 v[vgprValuC+188], s[sgprBeta], v187, v[vgprValuC+188], op_sel:[0,0,0] op_sel_hi:[0,1,0] // //C*=beta
v_cvt_f16_f32 v[vgprValuC+188], v[vgprValuC+188]   // convert C to fp16
_buffer_store_b16 v188, v6, s[sgprSrdD:sgprSrdD+3], 0, offen, offset:224 // store D

s_waitcnt vmcnt(63)                                // wait C (interleaved) 107 = 108 - 89 + 89 - 1
v_fma_mix_f32 v[vgprValuC+190], s[sgprBeta], v189, v[vgprValuC+190], op_sel:[0,0,0] op_sel_hi:[0,1,0] // //C*=beta
v_cvt_f16_f32 v[vgprValuC+190], v[vgprValuC+190]   // convert C to fp16
_buffer_store_b16 v190, v6, s[sgprSrdD:sgprSrdD+3], 0, offen, offset:256 // store D

s_waitcnt vmcnt(63)                                // wait C (interleaved) 107 = 108 - 90 + 90 - 1
v_fma_mix_f32 v[vgprValuC+192], s[sgprBeta], v191, v[vgprValuC+192], op_sel:[0,0,0] op_sel_hi:[0,1,0] // //C*=beta
v_cvt_f16_f32 v[vgprValuC+192], v[vgprValuC+192]   // convert C to fp16
s_lshl_b32  s52, s[sgprStrideD1J], 1               // incToNextRow: Scale by BPE
s_add_u32  s[sgprSrdD+0], s[sgprSrdD+0], s52       // incToNextRow: gra SRD += inc(lower)
s_addc_u32  s[sgprSrdD+1], s[sgprSrdD+1], 0        // incToNextRow: gra SRD += inc(upper)
_buffer_store_b16 v192, v6, s[sgprSrdD:sgprSrdD+3], 0, offen, offset:0 // store D

s_waitcnt vmcnt(63)                                // wait C (interleaved) 107 = 108 - 91 + 91 - 1
v_fma_mix_f32 v[vgprValuC+194], s[sgprBeta], v193, v[vgprValuC+194], op_sel:[0,0,0] op_sel_hi:[0,1,0] // //C*=beta
v_cvt_f16_f32 v[vgprValuC+194], v[vgprValuC+194]   // convert C to fp16
_buffer_store_b16 v194, v6, s[sgprSrdD:sgprSrdD+3], 0, offen, offset:32 // store D

s_waitcnt vmcnt(63)                                // wait C (interleaved) 107 = 108 - 92 + 92 - 1
v_fma_mix_f32 v[vgprValuC+196], s[sgprBeta], v195, v[vgprValuC+196], op_sel:[0,0,0] op_sel_hi:[0,1,0] // //C*=beta
v_cvt_f16_f32 v[vgprValuC+196], v[vgprValuC+196]   // convert C to fp16
_buffer_store_b16 v196, v6, s[sgprSrdD:sgprSrdD+3], 0, offen, offset:64 // store D

s_waitcnt vmcnt(63)                                // wait C (interleaved) 107 = 108 - 93 + 93 - 1
v_fma_mix_f32 v[vgprValuC+198], s[sgprBeta], v197, v[vgprValuC+198], op_sel:[0,0,0] op_sel_hi:[0,1,0] // //C*=beta
v_cvt_f16_f32 v[vgprValuC+198], v[vgprValuC+198]   // convert C to fp16
_buffer_store_b16 v198, v6, s[sgprSrdD:sgprSrdD+3], 0, offen, offset:96 // store D

s_waitcnt vmcnt(63)                                // wait C (interleaved) 107 = 108 - 94 + 94 - 1
v_fma_mix_f32 v[vgprValuC+200], s[sgprBeta], v199, v[vgprValuC+200], op_sel:[0,0,0] op_sel_hi:[0,1,0] // //C*=beta
v_cvt_f16_f32 v[vgprValuC+200], v[vgprValuC+200]   // convert C to fp16
_buffer_store_b16 v200, v6, s[sgprSrdD:sgprSrdD+3], 0, offen, offset:128 // store D

s_waitcnt vmcnt(63)                                // wait C (interleaved) 107 = 108 - 95 + 95 - 1
v_fma_mix_f32 v[vgprValuC+202], s[sgprBeta], v201, v[vgprValuC+202], op_sel:[0,0,0] op_sel_hi:[0,1,0] // //C*=beta
v_cvt_f16_f32 v[vgprValuC+202], v[vgprValuC+202]   // convert C to fp16
_buffer_store_b16 v202, v6, s[sgprSrdD:sgprSrdD+3], 0, offen, offset:160 // store D

s_waitcnt vmcnt(63)                                // wait C (interleaved) 107 = 108 - 96 + 96 - 1
v_fma_mix_f32 v[vgprValuC+204], s[sgprBeta], v203, v[vgprValuC+204], op_sel:[0,0,0] op_sel_hi:[0,1,0] // //C*=beta
v_cvt_f16_f32 v[vgprValuC+204], v[vgprValuC+204]   // convert C to fp16
_buffer_store_b16 v204, v6, s[sgprSrdD:sgprSrdD+3], 0, offen, offset:192 // store D

s_waitcnt vmcnt(63)                                // wait C (interleaved) 107 = 108 - 97 + 97 - 1
v_fma_mix_f32 v[vgprValuC+206], s[sgprBeta], v205, v[vgprValuC+206], op_sel:[0,0,0] op_sel_hi:[0,1,0] // //C*=beta
v_cvt_f16_f32 v[vgprValuC+206], v[vgprValuC+206]   // convert C to fp16
_buffer_store_b16 v206, v6, s[sgprSrdD:sgprSrdD+3], 0, offen, offset:224 // store D

s_waitcnt vmcnt(63)                                // wait C (interleaved) 107 = 108 - 98 + 98 - 1
v_fma_mix_f32 v[vgprValuC+208], s[sgprBeta], v207, v[vgprValuC+208], op_sel:[0,0,0] op_sel_hi:[0,1,0] // //C*=beta
v_cvt_f16_f32 v[vgprValuC+208], v[vgprValuC+208]   // convert C to fp16
_buffer_store_b16 v208, v6, s[sgprSrdD:sgprSrdD+3], 0, offen, offset:256 // store D

s_waitcnt vmcnt(63)                                // wait C (interleaved) 107 = 108 - 99 + 99 - 1
v_fma_mix_f32 v[vgprValuC+210], s[sgprBeta], v209, v[vgprValuC+210], op_sel:[0,0,0] op_sel_hi:[0,1,0] // //C*=beta
v_cvt_f16_f32 v[vgprValuC+210], v[vgprValuC+210]   // convert C to fp16
s_lshl_b32  s52, s[sgprStrideD1J], 1               // incToNextRow: Scale by BPE
s_add_u32  s[sgprSrdD+0], s[sgprSrdD+0], s52       // incToNextRow: gra SRD += inc(lower)
s_addc_u32  s[sgprSrdD+1], s[sgprSrdD+1], 0        // incToNextRow: gra SRD += inc(upper)
_buffer_store_b16 v210, v6, s[sgprSrdD:sgprSrdD+3], 0, offen, offset:0 // store D

s_waitcnt vmcnt(63)                                // wait C (interleaved) 107 = 108 - 100 + 100 - 1
v_fma_mix_f32 v[vgprValuC+212], s[sgprBeta], v211, v[vgprValuC+212], op_sel:[0,0,0] op_sel_hi:[0,1,0] // //C*=beta
v_cvt_f16_f32 v[vgprValuC+212], v[vgprValuC+212]   // convert C to fp16
_buffer_store_b16 v212, v6, s[sgprSrdD:sgprSrdD+3], 0, offen, offset:32 // store D

s_waitcnt vmcnt(63)                                // wait C (interleaved) 107 = 108 - 101 + 101 - 1
v_fma_mix_f32 v[vgprValuC+214], s[sgprBeta], v213, v[vgprValuC+214], op_sel:[0,0,0] op_sel_hi:[0,1,0] // //C*=beta
v_cvt_f16_f32 v[vgprValuC+214], v[vgprValuC+214]   // convert C to fp16
	;; [unrolled: 5-line block ×8, first 2 shown]
_buffer_store_b16 v226, v6, s[sgprSrdD:sgprSrdD+3], 0, offen, offset:256 // store D
s_nop 0                                            // 1 wait state required when next inst writes vgprs held by previous dwordx4 store inst
s_branch label_GW_End_44                           // jump to end
GW_B1_E1_43:

/* edge=1, allocate 6 sgpr. perBatchTmpS=4 perBatchMaskS=2 perElementMaskS=0 elementsPerBatch=82 */
/* optSingleColVgpr=0 optSharedColVgpr=0 optSGPRUsage=BufferLoad_Edge_Mask optSrdIncForRow=0 */

/******************************************/
/* Global Write Alpha Beta Edge Batch #0 (d1,d0,vc1,vc0) = */
/*    (0,0,0,0:vw1); (0,1,0,0:vw1); (0,2,0,0:vw1); (0,3,0,0:vw1); (0,4,0,0:vw1); (0,5,0,0:vw1); (0,6,0,0:vw1); (0,7,0,0:vw1); (0,8,0,0:vw1); (0,0,1,0:vw1); (0,1,1,0:vw1); (0,2,1,0:vw1); (0,3,1,0:vw1); (0,4,1,0:vw1); (0,5,1,0:vw1); (0,6,1,0:vw1); (0,7,1,0:vw1); (0,8,1,0:vw1); (0,0,2,0:vw1); (0,1,2,0:vw1); (0,2,2,0:vw1); (0,3,2,0:vw1); (0,4,2,0:vw1); (0,5,2,0:vw1); (0,6,2,0:vw1); (0,7,2,0:vw1); (0,8,2,0:vw1); (0,0,3,0:vw1); (0,1,3,0:vw1); (0,2,3,0:vw1); (0,3,3,0:vw1); (0,4,3,0:vw1); (0,5,3,0:vw1); (0,6,3,0:vw1); (0,7,3,0:vw1); (0,8,3,0:vw1); (1,0,0,0:vw1); (1,1,0,0:vw1); (1,2,0,0:vw1); (1,3,0,0:vw1); (1,4,0,0:vw1); (1,5,0,0:vw1); (1,6,0,0:vw1); (1,7,0,0:vw1); (1,8,0,0:vw1); (1,0,1,0:vw1); (1,1,1,0:vw1); (1,2,1,0:vw1); (1,3,1,0:vw1); (1,4,1,0:vw1); (1,5,1,0:vw1); (1,6,1,0:vw1); (1,7,1,0:vw1); (1,8,1,0:vw1); (1,0,2,0:vw1); (1,1,2,0:vw1); (1,2,2,0:vw1); (1,3,2,0:vw1); (1,4,2,0:vw1); (1,5,2,0:vw1); (1,6,2,0:vw1); (1,7,2,0:vw1); (1,8,2,0:vw1); (1,0,3,0:vw1); (1,1,3,0:vw1); (1,2,3,0:vw1); (1,3,3,0:vw1); (1,4,3,0:vw1); (1,5,3,0:vw1); (1,6,3,0:vw1); (1,7,3,0:vw1); (1,8,3,0:vw1); (2,0,0,0:vw1); (2,1,0,0:vw1); (2,2,0,0:vw1); (2,3,0,0:vw1); (2,4,0,0:vw1); (2,5,0,0:vw1); (2,6,0,0:vw1); (2,7,0,0:vw1); (2,8,0,0:vw1); (2,0,1,0:vw1) */
/******************************************/

/* calc coords, apply mask, and issue loads (if necessary) */
/* (d1,vc1,d0,vc0)=(0,0,0,0) */
v_cmp_lt_u32 s[52:53], v0, s[sgprSizeI]            // coord0 < size0
v_cmp_lt_u32 s[56:57], v1, s[sgprSizeJ]            // coord1 < size1
s_and_b64 s[56:57], s[52:53], s[56:57]             // in0 && in1
_v_add_lshl_u32 v6, v2, v0, 0x1                    // scaleToBpe: accumulate d0 lower and *= bpe into Cin addr
v_cndmask_b32 v6, -1, v6, s[56:57]                 // LDC clip if OOB. offset
_buffer_load_d16_b16 v7, v6, s[sgprSrdC:sgprSrdC+3], 0, offen offset:0 // load C for beta calc
_v_add_lshl_u32 v6, v3, v0, 0x1                    // scaleToBpe: accumulate d0 lower and *= bpe into Cin addr
v_cndmask_b32 v6, -1, v6, s[56:57]                 // LDD clip if OOB. offset
/* (d1,vc1,d0,vc0)=(0,0,1,0) */
_v_add_co_u32 v4, vcc, v0, 16                      // coord0.1: coord0 += d0*sg0*VW + vc0
v_cmp_lt_u32 s[52:53], v4, s[sgprSizeI]            // coord0 < size0
v_cmp_lt_u32 s[56:57], v1, s[sgprSizeJ]            // coord1 < size1
s_and_b64 s[56:57], s[52:53], s[56:57]             // in0 && in1
_v_add_lshl_u32 v9, v2, v4, 0x1                    // scaleToBpe: accumulate d0 lower and *= bpe into Cin addr
v_cndmask_b32 v9, -1, v9, s[56:57]                 // LDC clip if OOB. offset
_buffer_load_d16_b16 v10, v9, s[sgprSrdC:sgprSrdC+3], 0, offen offset:0 // load C for beta calc
_v_add_lshl_u32 v9, v3, v4, 0x1                    // scaleToBpe: accumulate d0 lower and *= bpe into Cin addr
v_cndmask_b32 v9, -1, v9, s[56:57]                 // LDD clip if OOB. offset
/* (d1,vc1,d0,vc0)=(0,0,2,0) */
_v_add_co_u32 v4, vcc, v0, 32                      // coord0.1: coord0 += d0*sg0*VW + vc0
v_cmp_lt_u32 s[52:53], v4, s[sgprSizeI]            // coord0 < size0
v_cmp_lt_u32 s[56:57], v1, s[sgprSizeJ]            // coord1 < size1
s_and_b64 s[56:57], s[52:53], s[56:57]             // in0 && in1
_v_add_lshl_u32 v12, v2, v4, 0x1                   // scaleToBpe: accumulate d0 lower and *= bpe into Cin addr
v_cndmask_b32 v12, -1, v12, s[56:57]               // LDC clip if OOB. offset
_buffer_load_d16_b16 v13, v12, s[sgprSrdC:sgprSrdC+3], 0, offen offset:0 // load C for beta calc
_v_add_lshl_u32 v12, v3, v4, 0x1                   // scaleToBpe: accumulate d0 lower and *= bpe into Cin addr
v_cndmask_b32 v12, -1, v12, s[56:57]               // LDD clip if OOB. offset
/* (d1,vc1,d0,vc0)=(0,0,3,0) */
_v_add_co_u32 v4, vcc, v0, 48                      // coord0.1: coord0 += d0*sg0*VW + vc0
v_cmp_lt_u32 s[52:53], v4, s[sgprSizeI]            // coord0 < size0
v_cmp_lt_u32 s[56:57], v1, s[sgprSizeJ]            // coord1 < size1
s_and_b64 s[56:57], s[52:53], s[56:57]             // in0 && in1
_v_add_lshl_u32 v15, v2, v4, 0x1                   // scaleToBpe: accumulate d0 lower and *= bpe into Cin addr
v_cndmask_b32 v15, -1, v15, s[56:57]               // LDC clip if OOB. offset
_buffer_load_d16_b16 v16, v15, s[sgprSrdC:sgprSrdC+3], 0, offen offset:0 // load C for beta calc
_v_add_lshl_u32 v15, v3, v4, 0x1                   // scaleToBpe: accumulate d0 lower and *= bpe into Cin addr
v_cndmask_b32 v15, -1, v15, s[56:57]               // LDD clip if OOB. offset
	;; [unrolled: 10-line block ×3, first 2 shown]
/* (d1,vc1,d0,vc0)=(0,0,5,0) */
s_mov_b32 s52, 80                                  // coordOffset0 d0=5 vc0=0
_v_add_co_u32 v4, vcc, v0, s52                     // coord0.2: coord0 += d0*sg0*VW + vc0
v_cmp_lt_u32 s[52:53], v4, s[sgprSizeI]            // coord0 < size0
v_cmp_lt_u32 s[56:57], v1, s[sgprSizeJ]            // coord1 < size1
s_and_b64 s[56:57], s[52:53], s[56:57]             // in0 && in1
_v_add_lshl_u32 v21, v2, v4, 0x1                   // scaleToBpe: accumulate d0 lower and *= bpe into Cin addr
v_cndmask_b32 v21, -1, v21, s[56:57]               // LDC clip if OOB. offset
_buffer_load_d16_b16 v22, v21, s[sgprSrdC:sgprSrdC+3], 0, offen offset:0 // load C for beta calc
_v_add_lshl_u32 v21, v3, v4, 0x1                   // scaleToBpe: accumulate d0 lower and *= bpe into Cin addr
v_cndmask_b32 v21, -1, v21, s[56:57]               // LDD clip if OOB. offset
/* (d1,vc1,d0,vc0)=(0,0,6,0) */
s_mov_b32 s52, 96                                  // coordOffset0 d0=6 vc0=0
_v_add_co_u32 v4, vcc, v0, s52                     // coord0.2: coord0 += d0*sg0*VW + vc0
v_cmp_lt_u32 s[52:53], v4, s[sgprSizeI]            // coord0 < size0
v_cmp_lt_u32 s[56:57], v1, s[sgprSizeJ]            // coord1 < size1
s_and_b64 s[56:57], s[52:53], s[56:57]             // in0 && in1
_v_add_lshl_u32 v24, v2, v4, 0x1                   // scaleToBpe: accumulate d0 lower and *= bpe into Cin addr
v_cndmask_b32 v24, -1, v24, s[56:57]               // LDC clip if OOB. offset
_buffer_load_d16_b16 v25, v24, s[sgprSrdC:sgprSrdC+3], 0, offen offset:0 // load C for beta calc
_v_add_lshl_u32 v24, v3, v4, 0x1                   // scaleToBpe: accumulate d0 lower and *= bpe into Cin addr
v_cndmask_b32 v24, -1, v24, s[56:57]               // LDD clip if OOB. offset
/* (d1,vc1,d0,vc0)=(0,0,7,0) */
s_mov_b32 s52, 112                                 // coordOffset0 d0=7 vc0=0
_v_add_co_u32 v4, vcc, v0, s52                     // coord0.2: coord0 += d0*sg0*VW + vc0
v_cmp_lt_u32 s[52:53], v4, s[sgprSizeI]            // coord0 < size0
v_cmp_lt_u32 s[56:57], v1, s[sgprSizeJ]            // coord1 < size1
s_and_b64 s[56:57], s[52:53], s[56:57]             // in0 && in1
_v_add_lshl_u32 v27, v2, v4, 0x1                   // scaleToBpe: accumulate d0 lower and *= bpe into Cin addr
v_cndmask_b32 v27, -1, v27, s[56:57]               // LDC clip if OOB. offset
_buffer_load_d16_b16 v28, v27, s[sgprSrdC:sgprSrdC+3], 0, offen offset:0 // load C for beta calc
_v_add_lshl_u32 v27, v3, v4, 0x1                   // scaleToBpe: accumulate d0 lower and *= bpe into Cin addr
v_cndmask_b32 v27, -1, v27, s[56:57]               // LDD clip if OOB. offset
/* (d1,vc1,d0,vc0)=(0,0,8,0) */
s_mov_b32 s52, 128                                 // coordOffset0 d0=8 vc0=0
_v_add_co_u32 v4, vcc, v0, s52                     // coord0.2: coord0 += d0*sg0*VW + vc0
v_cmp_lt_u32 s[52:53], v4, s[sgprSizeI]            // coord0 < size0
v_cmp_lt_u32 s[56:57], v1, s[sgprSizeJ]            // coord1 < size1
s_and_b64 s[56:57], s[52:53], s[56:57]             // in0 && in1
_v_add_lshl_u32 v30, v2, v4, 0x1                   // scaleToBpe: accumulate d0 lower and *= bpe into Cin addr
v_cndmask_b32 v30, -1, v30, s[56:57]               // LDC clip if OOB. offset
_buffer_load_d16_b16 v31, v30, s[sgprSrdC:sgprSrdC+3], 0, offen offset:0 // load C for beta calc
_v_add_lshl_u32 v30, v3, v4, 0x1                   // scaleToBpe: accumulate d0 lower and *= bpe into Cin addr
v_cndmask_b32 v30, -1, v30, s[56:57]               // LDD clip if OOB. offset
/* (d1,vc1,d0,vc0)=(0,1,0,0) */
_v_add_co_u32 v1, vcc, v1, 1                       // coord1.1: coord1Vgpr += d1*sg1*VW + vc1

/* Fix for UseInitialStridesCD, emitAddressSetupCode */
_v_add_u32 v2, v2, s[sgprStrideC1J]                // ROWINC- Move cinRowPtr to next row
_v_add_u32 v3, v3, s[sgprStrideD1J]                // Move coutRowPtr to next row
v_cmp_lt_u32 s[52:53], v0, s[sgprSizeI]            // coord0 < size0
v_cmp_lt_u32 s[56:57], v1, s[sgprSizeJ]            // coord1 < size1
s_and_b64 s[56:57], s[52:53], s[56:57]             // in0 && in1
_v_add_lshl_u32 v33, v2, v0, 0x1                   // scaleToBpe: accumulate d0 lower and *= bpe into Cin addr
v_cndmask_b32 v33, -1, v33, s[56:57]               // LDC clip if OOB. offset
_buffer_load_d16_b16 v34, v33, s[sgprSrdC:sgprSrdC+3], 0, offen offset:0 // load C for beta calc
_v_add_lshl_u32 v33, v3, v0, 0x1                   // scaleToBpe: accumulate d0 lower and *= bpe into Cin addr
v_cndmask_b32 v33, -1, v33, s[56:57]               // LDD clip if OOB. offset
/* (d1,vc1,d0,vc0)=(0,1,1,0) */
_v_add_co_u32 v4, vcc, v0, 16                      // coord0.1: coord0 += d0*sg0*VW + vc0
v_cmp_lt_u32 s[52:53], v4, s[sgprSizeI]            // coord0 < size0
v_cmp_lt_u32 s[56:57], v1, s[sgprSizeJ]            // coord1 < size1
s_and_b64 s[56:57], s[52:53], s[56:57]             // in0 && in1
_v_add_lshl_u32 v36, v2, v4, 0x1                   // scaleToBpe: accumulate d0 lower and *= bpe into Cin addr
v_cndmask_b32 v36, -1, v36, s[56:57]               // LDC clip if OOB. offset
_buffer_load_d16_b16 v37, v36, s[sgprSrdC:sgprSrdC+3], 0, offen offset:0 // load C for beta calc
_v_add_lshl_u32 v36, v3, v4, 0x1                   // scaleToBpe: accumulate d0 lower and *= bpe into Cin addr
v_cndmask_b32 v36, -1, v36, s[56:57]               // LDD clip if OOB. offset
/* (d1,vc1,d0,vc0)=(0,1,2,0) */
_v_add_co_u32 v4, vcc, v0, 32                      // coord0.1: coord0 += d0*sg0*VW + vc0
	;; [unrolled: 10-line block ×4, first 2 shown]
v_cmp_lt_u32 s[52:53], v4, s[sgprSizeI]            // coord0 < size0
v_cmp_lt_u32 s[56:57], v1, s[sgprSizeJ]            // coord1 < size1
s_and_b64 s[56:57], s[52:53], s[56:57]             // in0 && in1
_v_add_lshl_u32 v45, v2, v4, 0x1                   // scaleToBpe: accumulate d0 lower and *= bpe into Cin addr
v_cndmask_b32 v45, -1, v45, s[56:57]               // LDC clip if OOB. offset
_buffer_load_d16_b16 v46, v45, s[sgprSrdC:sgprSrdC+3], 0, offen offset:0 // load C for beta calc
_v_add_lshl_u32 v45, v3, v4, 0x1                   // scaleToBpe: accumulate d0 lower and *= bpe into Cin addr
v_cndmask_b32 v45, -1, v45, s[56:57]               // LDD clip if OOB. offset
/* (d1,vc1,d0,vc0)=(0,1,5,0) */
s_mov_b32 s52, 80                                  // coordOffset0 d0=5 vc0=0
_v_add_co_u32 v4, vcc, v0, s52                     // coord0.2: coord0 += d0*sg0*VW + vc0
v_cmp_lt_u32 s[52:53], v4, s[sgprSizeI]            // coord0 < size0
v_cmp_lt_u32 s[56:57], v1, s[sgprSizeJ]            // coord1 < size1
s_and_b64 s[56:57], s[52:53], s[56:57]             // in0 && in1
_v_add_lshl_u32 v48, v2, v4, 0x1                   // scaleToBpe: accumulate d0 lower and *= bpe into Cin addr
v_cndmask_b32 v48, -1, v48, s[56:57]               // LDC clip if OOB. offset
_buffer_load_d16_b16 v49, v48, s[sgprSrdC:sgprSrdC+3], 0, offen offset:0 // load C for beta calc
_v_add_lshl_u32 v48, v3, v4, 0x1                   // scaleToBpe: accumulate d0 lower and *= bpe into Cin addr
v_cndmask_b32 v48, -1, v48, s[56:57]               // LDD clip if OOB. offset
/* (d1,vc1,d0,vc0)=(0,1,6,0) */
s_mov_b32 s52, 96                                  // coordOffset0 d0=6 vc0=0
_v_add_co_u32 v4, vcc, v0, s52                     // coord0.2: coord0 += d0*sg0*VW + vc0
v_cmp_lt_u32 s[52:53], v4, s[sgprSizeI]            // coord0 < size0
v_cmp_lt_u32 s[56:57], v1, s[sgprSizeJ]            // coord1 < size1
s_and_b64 s[56:57], s[52:53], s[56:57]             // in0 && in1
_v_add_lshl_u32 v51, v2, v4, 0x1                   // scaleToBpe: accumulate d0 lower and *= bpe into Cin addr
v_cndmask_b32 v51, -1, v51, s[56:57]               // LDC clip if OOB. offset
_buffer_load_d16_b16 v52, v51, s[sgprSrdC:sgprSrdC+3], 0, offen offset:0 // load C for beta calc
_v_add_lshl_u32 v51, v3, v4, 0x1                   // scaleToBpe: accumulate d0 lower and *= bpe into Cin addr
v_cndmask_b32 v51, -1, v51, s[56:57]               // LDD clip if OOB. offset
/* (d1,vc1,d0,vc0)=(0,1,7,0) */
s_mov_b32 s52, 112                                 // coordOffset0 d0=7 vc0=0
_v_add_co_u32 v4, vcc, v0, s52                     // coord0.2: coord0 += d0*sg0*VW + vc0
v_cmp_lt_u32 s[52:53], v4, s[sgprSizeI]            // coord0 < size0
v_cmp_lt_u32 s[56:57], v1, s[sgprSizeJ]            // coord1 < size1
s_and_b64 s[56:57], s[52:53], s[56:57]             // in0 && in1
_v_add_lshl_u32 v54, v2, v4, 0x1                   // scaleToBpe: accumulate d0 lower and *= bpe into Cin addr
v_cndmask_b32 v54, -1, v54, s[56:57]               // LDC clip if OOB. offset
_buffer_load_d16_b16 v55, v54, s[sgprSrdC:sgprSrdC+3], 0, offen offset:0 // load C for beta calc
_v_add_lshl_u32 v54, v3, v4, 0x1                   // scaleToBpe: accumulate d0 lower and *= bpe into Cin addr
v_cndmask_b32 v54, -1, v54, s[56:57]               // LDD clip if OOB. offset
/* (d1,vc1,d0,vc0)=(0,1,8,0) */
s_mov_b32 s52, 128                                 // coordOffset0 d0=8 vc0=0
_v_add_co_u32 v4, vcc, v0, s52                     // coord0.2: coord0 += d0*sg0*VW + vc0
v_cmp_lt_u32 s[52:53], v4, s[sgprSizeI]            // coord0 < size0
v_cmp_lt_u32 s[56:57], v1, s[sgprSizeJ]            // coord1 < size1
s_and_b64 s[56:57], s[52:53], s[56:57]             // in0 && in1
_v_add_lshl_u32 v57, v2, v4, 0x1                   // scaleToBpe: accumulate d0 lower and *= bpe into Cin addr
v_cndmask_b32 v57, -1, v57, s[56:57]               // LDC clip if OOB. offset
_buffer_load_d16_b16 v58, v57, s[sgprSrdC:sgprSrdC+3], 0, offen offset:0 // load C for beta calc
_v_add_lshl_u32 v57, v3, v4, 0x1                   // scaleToBpe: accumulate d0 lower and *= bpe into Cin addr
v_cndmask_b32 v57, -1, v57, s[56:57]               // LDD clip if OOB. offset
/* (d1,vc1,d0,vc0)=(0,2,0,0) */
_v_add_co_u32 v1, vcc, v1, 1                       // coord1.1: coord1Vgpr += d1*sg1*VW + vc1

/* Fix for UseInitialStridesCD, emitAddressSetupCode */
_v_add_u32 v2, v2, s[sgprStrideC1J]                // ROWINC- Move cinRowPtr to next row
_v_add_u32 v3, v3, s[sgprStrideD1J]                // Move coutRowPtr to next row
v_cmp_lt_u32 s[52:53], v0, s[sgprSizeI]            // coord0 < size0
v_cmp_lt_u32 s[56:57], v1, s[sgprSizeJ]            // coord1 < size1
s_and_b64 s[56:57], s[52:53], s[56:57]             // in0 && in1
_v_add_lshl_u32 v60, v2, v0, 0x1                   // scaleToBpe: accumulate d0 lower and *= bpe into Cin addr
v_cndmask_b32 v60, -1, v60, s[56:57]               // LDC clip if OOB. offset
_buffer_load_d16_b16 v61, v60, s[sgprSrdC:sgprSrdC+3], 0, offen offset:0 // load C for beta calc
_v_add_lshl_u32 v60, v3, v0, 0x1                   // scaleToBpe: accumulate d0 lower and *= bpe into Cin addr
v_cndmask_b32 v60, -1, v60, s[56:57]               // LDD clip if OOB. offset
/* (d1,vc1,d0,vc0)=(0,2,1,0) */
_v_add_co_u32 v4, vcc, v0, 16                      // coord0.1: coord0 += d0*sg0*VW + vc0
v_cmp_lt_u32 s[52:53], v4, s[sgprSizeI]            // coord0 < size0
v_cmp_lt_u32 s[56:57], v1, s[sgprSizeJ]            // coord1 < size1
s_and_b64 s[56:57], s[52:53], s[56:57]             // in0 && in1
_v_add_lshl_u32 v63, v2, v4, 0x1                   // scaleToBpe: accumulate d0 lower and *= bpe into Cin addr
v_cndmask_b32 v63, -1, v63, s[56:57]               // LDC clip if OOB. offset
_buffer_load_d16_b16 v64, v63, s[sgprSrdC:sgprSrdC+3], 0, offen offset:0 // load C for beta calc
_v_add_lshl_u32 v63, v3, v4, 0x1                   // scaleToBpe: accumulate d0 lower and *= bpe into Cin addr
v_cndmask_b32 v63, -1, v63, s[56:57]               // LDD clip if OOB. offset
/* (d1,vc1,d0,vc0)=(0,2,2,0) */
_v_add_co_u32 v4, vcc, v0, 32                      // coord0.1: coord0 += d0*sg0*VW + vc0
v_cmp_lt_u32 s[52:53], v4, s[sgprSizeI]            // coord0 < size0
v_cmp_lt_u32 s[56:57], v1, s[sgprSizeJ]            // coord1 < size1
s_and_b64 s[56:57], s[52:53], s[56:57]             // in0 && in1
_v_add_lshl_u32 v66, v2, v4, 0x1                   // scaleToBpe: accumulate d0 lower and *= bpe into Cin addr
v_cndmask_b32 v66, -1, v66, s[56:57]               // LDC clip if OOB. offset
_buffer_load_d16_b16 v67, v66, s[sgprSrdC:sgprSrdC+3], 0, offen offset:0 // load C for beta calc
_v_add_lshl_u32 v66, v3, v4, 0x1                   // scaleToBpe: accumulate d0 lower and *= bpe into Cin addr
v_cndmask_b32 v66, -1, v66, s[56:57]               // LDD clip if OOB. offset
/* (d1,vc1,d0,vc0)=(0,2,3,0) */
_v_add_co_u32 v4, vcc, v0, 48                      // coord0.1: coord0 += d0*sg0*VW + vc0
v_cmp_lt_u32 s[52:53], v4, s[sgprSizeI]            // coord0 < size0
v_cmp_lt_u32 s[56:57], v1, s[sgprSizeJ]            // coord1 < size1
s_and_b64 s[56:57], s[52:53], s[56:57]             // in0 && in1
_v_add_lshl_u32 v69, v2, v4, 0x1                   // scaleToBpe: accumulate d0 lower and *= bpe into Cin addr
v_cndmask_b32 v69, -1, v69, s[56:57]               // LDC clip if OOB. offset
_buffer_load_d16_b16 v70, v69, s[sgprSrdC:sgprSrdC+3], 0, offen offset:0 // load C for beta calc
_v_add_lshl_u32 v69, v3, v4, 0x1                   // scaleToBpe: accumulate d0 lower and *= bpe into Cin addr
v_cndmask_b32 v69, -1, v69, s[56:57]               // LDD clip if OOB. offset
/* (d1,vc1,d0,vc0)=(0,2,4,0) */
_v_add_co_u32 v4, vcc, v0, 64                      // coord0.1: coord0 += d0*sg0*VW + vc0
v_cmp_lt_u32 s[52:53], v4, s[sgprSizeI]            // coord0 < size0
v_cmp_lt_u32 s[56:57], v1, s[sgprSizeJ]            // coord1 < size1
s_and_b64 s[56:57], s[52:53], s[56:57]             // in0 && in1
_v_add_lshl_u32 v72, v2, v4, 0x1                   // scaleToBpe: accumulate d0 lower and *= bpe into Cin addr
v_cndmask_b32 v72, -1, v72, s[56:57]               // LDC clip if OOB. offset
_buffer_load_d16_b16 v73, v72, s[sgprSrdC:sgprSrdC+3], 0, offen offset:0 // load C for beta calc
_v_add_lshl_u32 v72, v3, v4, 0x1                   // scaleToBpe: accumulate d0 lower and *= bpe into Cin addr
v_cndmask_b32 v72, -1, v72, s[56:57]               // LDD clip if OOB. offset
/* (d1,vc1,d0,vc0)=(0,2,5,0) */
s_mov_b32 s52, 80                                  // coordOffset0 d0=5 vc0=0
_v_add_co_u32 v4, vcc, v0, s52                     // coord0.2: coord0 += d0*sg0*VW + vc0
v_cmp_lt_u32 s[52:53], v4, s[sgprSizeI]            // coord0 < size0
v_cmp_lt_u32 s[56:57], v1, s[sgprSizeJ]            // coord1 < size1
s_and_b64 s[56:57], s[52:53], s[56:57]             // in0 && in1
_v_add_lshl_u32 v75, v2, v4, 0x1                   // scaleToBpe: accumulate d0 lower and *= bpe into Cin addr
v_cndmask_b32 v75, -1, v75, s[56:57]               // LDC clip if OOB. offset
_buffer_load_d16_b16 v76, v75, s[sgprSrdC:sgprSrdC+3], 0, offen offset:0 // load C for beta calc
_v_add_lshl_u32 v75, v3, v4, 0x1                   // scaleToBpe: accumulate d0 lower and *= bpe into Cin addr
v_cndmask_b32 v75, -1, v75, s[56:57]               // LDD clip if OOB. offset
/* (d1,vc1,d0,vc0)=(0,2,6,0) */
s_mov_b32 s52, 96                                  // coordOffset0 d0=6 vc0=0
_v_add_co_u32 v4, vcc, v0, s52                     // coord0.2: coord0 += d0*sg0*VW + vc0
v_cmp_lt_u32 s[52:53], v4, s[sgprSizeI]            // coord0 < size0
v_cmp_lt_u32 s[56:57], v1, s[sgprSizeJ]            // coord1 < size1
s_and_b64 s[56:57], s[52:53], s[56:57]             // in0 && in1
_v_add_lshl_u32 v78, v2, v4, 0x1                   // scaleToBpe: accumulate d0 lower and *= bpe into Cin addr
v_cndmask_b32 v78, -1, v78, s[56:57]               // LDC clip if OOB. offset
_buffer_load_d16_b16 v79, v78, s[sgprSrdC:sgprSrdC+3], 0, offen offset:0 // load C for beta calc
_v_add_lshl_u32 v78, v3, v4, 0x1                   // scaleToBpe: accumulate d0 lower and *= bpe into Cin addr
v_cndmask_b32 v78, -1, v78, s[56:57]               // LDD clip if OOB. offset
/* (d1,vc1,d0,vc0)=(0,2,7,0) */
s_mov_b32 s52, 112                                 // coordOffset0 d0=7 vc0=0
_v_add_co_u32 v4, vcc, v0, s52                     // coord0.2: coord0 += d0*sg0*VW + vc0
v_cmp_lt_u32 s[52:53], v4, s[sgprSizeI]            // coord0 < size0
v_cmp_lt_u32 s[56:57], v1, s[sgprSizeJ]            // coord1 < size1
s_and_b64 s[56:57], s[52:53], s[56:57]             // in0 && in1
_v_add_lshl_u32 v81, v2, v4, 0x1                   // scaleToBpe: accumulate d0 lower and *= bpe into Cin addr
v_cndmask_b32 v81, -1, v81, s[56:57]               // LDC clip if OOB. offset
_buffer_load_d16_b16 v82, v81, s[sgprSrdC:sgprSrdC+3], 0, offen offset:0 // load C for beta calc
_v_add_lshl_u32 v81, v3, v4, 0x1                   // scaleToBpe: accumulate d0 lower and *= bpe into Cin addr
v_cndmask_b32 v81, -1, v81, s[56:57]               // LDD clip if OOB. offset
/* (d1,vc1,d0,vc0)=(0,2,8,0) */
s_mov_b32 s52, 128                                 // coordOffset0 d0=8 vc0=0
_v_add_co_u32 v4, vcc, v0, s52                     // coord0.2: coord0 += d0*sg0*VW + vc0
v_cmp_lt_u32 s[52:53], v4, s[sgprSizeI]            // coord0 < size0
v_cmp_lt_u32 s[56:57], v1, s[sgprSizeJ]            // coord1 < size1
s_and_b64 s[56:57], s[52:53], s[56:57]             // in0 && in1
_v_add_lshl_u32 v84, v2, v4, 0x1                   // scaleToBpe: accumulate d0 lower and *= bpe into Cin addr
v_cndmask_b32 v84, -1, v84, s[56:57]               // LDC clip if OOB. offset
_buffer_load_d16_b16 v85, v84, s[sgprSrdC:sgprSrdC+3], 0, offen offset:0 // load C for beta calc
_v_add_lshl_u32 v84, v3, v4, 0x1                   // scaleToBpe: accumulate d0 lower and *= bpe into Cin addr
v_cndmask_b32 v84, -1, v84, s[56:57]               // LDD clip if OOB. offset
/* (d1,vc1,d0,vc0)=(0,3,0,0) */
_v_add_co_u32 v1, vcc, v1, 1                       // coord1.1: coord1Vgpr += d1*sg1*VW + vc1

/* Fix for UseInitialStridesCD, emitAddressSetupCode */
_v_add_u32 v2, v2, s[sgprStrideC1J]                // ROWINC- Move cinRowPtr to next row
_v_add_u32 v3, v3, s[sgprStrideD1J]                // Move coutRowPtr to next row
v_cmp_lt_u32 s[52:53], v0, s[sgprSizeI]            // coord0 < size0
v_cmp_lt_u32 s[56:57], v1, s[sgprSizeJ]            // coord1 < size1
s_and_b64 s[56:57], s[52:53], s[56:57]             // in0 && in1
_v_add_lshl_u32 v87, v2, v0, 0x1                   // scaleToBpe: accumulate d0 lower and *= bpe into Cin addr
v_cndmask_b32 v87, -1, v87, s[56:57]               // LDC clip if OOB. offset
_buffer_load_d16_b16 v88, v87, s[sgprSrdC:sgprSrdC+3], 0, offen offset:0 // load C for beta calc
_v_add_lshl_u32 v87, v3, v0, 0x1                   // scaleToBpe: accumulate d0 lower and *= bpe into Cin addr
v_cndmask_b32 v87, -1, v87, s[56:57]               // LDD clip if OOB. offset
/* (d1,vc1,d0,vc0)=(0,3,1,0) */
_v_add_co_u32 v4, vcc, v0, 16                      // coord0.1: coord0 += d0*sg0*VW + vc0
v_cmp_lt_u32 s[52:53], v4, s[sgprSizeI]            // coord0 < size0
v_cmp_lt_u32 s[56:57], v1, s[sgprSizeJ]            // coord1 < size1
s_and_b64 s[56:57], s[52:53], s[56:57]             // in0 && in1
_v_add_lshl_u32 v90, v2, v4, 0x1                   // scaleToBpe: accumulate d0 lower and *= bpe into Cin addr
v_cndmask_b32 v90, -1, v90, s[56:57]               // LDC clip if OOB. offset
_buffer_load_d16_b16 v91, v90, s[sgprSrdC:sgprSrdC+3], 0, offen offset:0 // load C for beta calc
_v_add_lshl_u32 v90, v3, v4, 0x1                   // scaleToBpe: accumulate d0 lower and *= bpe into Cin addr
v_cndmask_b32 v90, -1, v90, s[56:57]               // LDD clip if OOB. offset
/* (d1,vc1,d0,vc0)=(0,3,2,0) */
_v_add_co_u32 v4, vcc, v0, 32                      // coord0.1: coord0 += d0*sg0*VW + vc0
	;; [unrolled: 10-line block ×4, first 2 shown]
v_cmp_lt_u32 s[52:53], v4, s[sgprSizeI]            // coord0 < size0
v_cmp_lt_u32 s[56:57], v1, s[sgprSizeJ]            // coord1 < size1
s_and_b64 s[56:57], s[52:53], s[56:57]             // in0 && in1
_v_add_lshl_u32 v102, v2, v4, 0x1                  // scaleToBpe: accumulate d0 lower and *= bpe into Cin addr
v_cndmask_b32 v102, -1, v102, s[56:57]             // LDC clip if OOB. offset
_buffer_load_d16_b16 v103, v102, s[sgprSrdC:sgprSrdC+3], 0, offen offset:0 // load C for beta calc
_v_add_lshl_u32 v102, v3, v4, 0x1                  // scaleToBpe: accumulate d0 lower and *= bpe into Cin addr
v_cndmask_b32 v102, -1, v102, s[56:57]             // LDD clip if OOB. offset
/* (d1,vc1,d0,vc0)=(0,3,5,0) */
s_mov_b32 s52, 80                                  // coordOffset0 d0=5 vc0=0
_v_add_co_u32 v4, vcc, v0, s52                     // coord0.2: coord0 += d0*sg0*VW + vc0
v_cmp_lt_u32 s[52:53], v4, s[sgprSizeI]            // coord0 < size0
v_cmp_lt_u32 s[56:57], v1, s[sgprSizeJ]            // coord1 < size1
s_and_b64 s[56:57], s[52:53], s[56:57]             // in0 && in1
_v_add_lshl_u32 v105, v2, v4, 0x1                  // scaleToBpe: accumulate d0 lower and *= bpe into Cin addr
v_cndmask_b32 v105, -1, v105, s[56:57]             // LDC clip if OOB. offset
_buffer_load_d16_b16 v106, v105, s[sgprSrdC:sgprSrdC+3], 0, offen offset:0 // load C for beta calc
_v_add_lshl_u32 v105, v3, v4, 0x1                  // scaleToBpe: accumulate d0 lower and *= bpe into Cin addr
v_cndmask_b32 v105, -1, v105, s[56:57]             // LDD clip if OOB. offset
/* (d1,vc1,d0,vc0)=(0,3,6,0) */
s_mov_b32 s52, 96                                  // coordOffset0 d0=6 vc0=0
_v_add_co_u32 v4, vcc, v0, s52                     // coord0.2: coord0 += d0*sg0*VW + vc0
v_cmp_lt_u32 s[52:53], v4, s[sgprSizeI]            // coord0 < size0
v_cmp_lt_u32 s[56:57], v1, s[sgprSizeJ]            // coord1 < size1
s_and_b64 s[56:57], s[52:53], s[56:57]             // in0 && in1
_v_add_lshl_u32 v108, v2, v4, 0x1                  // scaleToBpe: accumulate d0 lower and *= bpe into Cin addr
v_cndmask_b32 v108, -1, v108, s[56:57]             // LDC clip if OOB. offset
_buffer_load_d16_b16 v109, v108, s[sgprSrdC:sgprSrdC+3], 0, offen offset:0 // load C for beta calc
_v_add_lshl_u32 v108, v3, v4, 0x1                  // scaleToBpe: accumulate d0 lower and *= bpe into Cin addr
v_cndmask_b32 v108, -1, v108, s[56:57]             // LDD clip if OOB. offset
/* (d1,vc1,d0,vc0)=(0,3,7,0) */
s_mov_b32 s52, 112                                 // coordOffset0 d0=7 vc0=0
_v_add_co_u32 v4, vcc, v0, s52                     // coord0.2: coord0 += d0*sg0*VW + vc0
v_cmp_lt_u32 s[52:53], v4, s[sgprSizeI]            // coord0 < size0
v_cmp_lt_u32 s[56:57], v1, s[sgprSizeJ]            // coord1 < size1
s_and_b64 s[56:57], s[52:53], s[56:57]             // in0 && in1
_v_add_lshl_u32 v111, v2, v4, 0x1                  // scaleToBpe: accumulate d0 lower and *= bpe into Cin addr
v_cndmask_b32 v111, -1, v111, s[56:57]             // LDC clip if OOB. offset
_buffer_load_d16_b16 v112, v111, s[sgprSrdC:sgprSrdC+3], 0, offen offset:0 // load C for beta calc
_v_add_lshl_u32 v111, v3, v4, 0x1                  // scaleToBpe: accumulate d0 lower and *= bpe into Cin addr
v_cndmask_b32 v111, -1, v111, s[56:57]             // LDD clip if OOB. offset
/* (d1,vc1,d0,vc0)=(0,3,8,0) */
s_mov_b32 s52, 128                                 // coordOffset0 d0=8 vc0=0
_v_add_co_u32 v4, vcc, v0, s52                     // coord0.2: coord0 += d0*sg0*VW + vc0
v_cmp_lt_u32 s[52:53], v4, s[sgprSizeI]            // coord0 < size0
v_cmp_lt_u32 s[56:57], v1, s[sgprSizeJ]            // coord1 < size1
s_and_b64 s[56:57], s[52:53], s[56:57]             // in0 && in1
_v_add_lshl_u32 v114, v2, v4, 0x1                  // scaleToBpe: accumulate d0 lower and *= bpe into Cin addr
v_cndmask_b32 v114, -1, v114, s[56:57]             // LDC clip if OOB. offset
_buffer_load_d16_b16 v115, v114, s[sgprSrdC:sgprSrdC+3], 0, offen offset:0 // load C for beta calc
_v_add_lshl_u32 v114, v3, v4, 0x1                  // scaleToBpe: accumulate d0 lower and *= bpe into Cin addr
v_cndmask_b32 v114, -1, v114, s[56:57]             // LDD clip if OOB. offset
/* (d1,vc1,d0,vc0)=(1,0,0,0) */
_v_add_co_u32 v1, vcc, v1, 61                      // coord1.1: coord1Vgpr += d1*sg1*VW + vc1

/* Fix for UseInitialStridesCD, emitAddressSetupCode */
s_mul_i32 s52, s[sgprStrideC1J], 61                // scale stride
_v_add_u32 v2, v2, s52                             // ROWINC- Move cinRowPtr to next row
s_mul_i32 s52, s[sgprStrideD1J], 61                // scale stride
_v_add_u32 v3, v3, s52                             // Move coutRowPtr to next row
v_cmp_lt_u32 s[52:53], v0, s[sgprSizeI]            // coord0 < size0
v_cmp_lt_u32 s[56:57], v1, s[sgprSizeJ]            // coord1 < size1
s_and_b64 s[56:57], s[52:53], s[56:57]             // in0 && in1
_v_add_lshl_u32 v117, v2, v0, 0x1                  // scaleToBpe: accumulate d0 lower and *= bpe into Cin addr
v_cndmask_b32 v117, -1, v117, s[56:57]             // LDC clip if OOB. offset
_buffer_load_d16_b16 v118, v117, s[sgprSrdC:sgprSrdC+3], 0, offen offset:0 // load C for beta calc
_v_add_lshl_u32 v117, v3, v0, 0x1                  // scaleToBpe: accumulate d0 lower and *= bpe into Cin addr
v_cndmask_b32 v117, -1, v117, s[56:57]             // LDD clip if OOB. offset
/* (d1,vc1,d0,vc0)=(1,0,1,0) */
_v_add_co_u32 v4, vcc, v0, 16                      // coord0.1: coord0 += d0*sg0*VW + vc0
v_cmp_lt_u32 s[52:53], v4, s[sgprSizeI]            // coord0 < size0
v_cmp_lt_u32 s[56:57], v1, s[sgprSizeJ]            // coord1 < size1
s_and_b64 s[56:57], s[52:53], s[56:57]             // in0 && in1
_v_add_lshl_u32 v120, v2, v4, 0x1                  // scaleToBpe: accumulate d0 lower and *= bpe into Cin addr
v_cndmask_b32 v120, -1, v120, s[56:57]             // LDC clip if OOB. offset
_buffer_load_d16_b16 v121, v120, s[sgprSrdC:sgprSrdC+3], 0, offen offset:0 // load C for beta calc
_v_add_lshl_u32 v120, v3, v4, 0x1                  // scaleToBpe: accumulate d0 lower and *= bpe into Cin addr
v_cndmask_b32 v120, -1, v120, s[56:57]             // LDD clip if OOB. offset
/* (d1,vc1,d0,vc0)=(1,0,2,0) */
_v_add_co_u32 v4, vcc, v0, 32                      // coord0.1: coord0 += d0*sg0*VW + vc0
	;; [unrolled: 10-line block ×4, first 2 shown]
v_cmp_lt_u32 s[52:53], v4, s[sgprSizeI]            // coord0 < size0
v_cmp_lt_u32 s[56:57], v1, s[sgprSizeJ]            // coord1 < size1
s_and_b64 s[56:57], s[52:53], s[56:57]             // in0 && in1
_v_add_lshl_u32 v129, v2, v4, 0x1                  // scaleToBpe: accumulate d0 lower and *= bpe into Cin addr
v_cndmask_b32 v129, -1, v129, s[56:57]             // LDC clip if OOB. offset
_buffer_load_d16_b16 v130, v129, s[sgprSrdC:sgprSrdC+3], 0, offen offset:0 // load C for beta calc
_v_add_lshl_u32 v129, v3, v4, 0x1                  // scaleToBpe: accumulate d0 lower and *= bpe into Cin addr
v_cndmask_b32 v129, -1, v129, s[56:57]             // LDD clip if OOB. offset
/* (d1,vc1,d0,vc0)=(1,0,5,0) */
s_mov_b32 s52, 80                                  // coordOffset0 d0=5 vc0=0
_v_add_co_u32 v4, vcc, v0, s52                     // coord0.2: coord0 += d0*sg0*VW + vc0
v_cmp_lt_u32 s[52:53], v4, s[sgprSizeI]            // coord0 < size0
v_cmp_lt_u32 s[56:57], v1, s[sgprSizeJ]            // coord1 < size1
s_and_b64 s[56:57], s[52:53], s[56:57]             // in0 && in1
_v_add_lshl_u32 v132, v2, v4, 0x1                  // scaleToBpe: accumulate d0 lower and *= bpe into Cin addr
v_cndmask_b32 v132, -1, v132, s[56:57]             // LDC clip if OOB. offset
_buffer_load_d16_b16 v133, v132, s[sgprSrdC:sgprSrdC+3], 0, offen offset:0 // load C for beta calc
_v_add_lshl_u32 v132, v3, v4, 0x1                  // scaleToBpe: accumulate d0 lower and *= bpe into Cin addr
v_cndmask_b32 v132, -1, v132, s[56:57]             // LDD clip if OOB. offset
/* (d1,vc1,d0,vc0)=(1,0,6,0) */
s_mov_b32 s52, 96                                  // coordOffset0 d0=6 vc0=0
_v_add_co_u32 v4, vcc, v0, s52                     // coord0.2: coord0 += d0*sg0*VW + vc0
v_cmp_lt_u32 s[52:53], v4, s[sgprSizeI]            // coord0 < size0
v_cmp_lt_u32 s[56:57], v1, s[sgprSizeJ]            // coord1 < size1
s_and_b64 s[56:57], s[52:53], s[56:57]             // in0 && in1
_v_add_lshl_u32 v135, v2, v4, 0x1                  // scaleToBpe: accumulate d0 lower and *= bpe into Cin addr
v_cndmask_b32 v135, -1, v135, s[56:57]             // LDC clip if OOB. offset
_buffer_load_d16_b16 v136, v135, s[sgprSrdC:sgprSrdC+3], 0, offen offset:0 // load C for beta calc
_v_add_lshl_u32 v135, v3, v4, 0x1                  // scaleToBpe: accumulate d0 lower and *= bpe into Cin addr
v_cndmask_b32 v135, -1, v135, s[56:57]             // LDD clip if OOB. offset
/* (d1,vc1,d0,vc0)=(1,0,7,0) */
s_mov_b32 s52, 112                                 // coordOffset0 d0=7 vc0=0
_v_add_co_u32 v4, vcc, v0, s52                     // coord0.2: coord0 += d0*sg0*VW + vc0
v_cmp_lt_u32 s[52:53], v4, s[sgprSizeI]            // coord0 < size0
v_cmp_lt_u32 s[56:57], v1, s[sgprSizeJ]            // coord1 < size1
s_and_b64 s[56:57], s[52:53], s[56:57]             // in0 && in1
_v_add_lshl_u32 v138, v2, v4, 0x1                  // scaleToBpe: accumulate d0 lower and *= bpe into Cin addr
v_cndmask_b32 v138, -1, v138, s[56:57]             // LDC clip if OOB. offset
_buffer_load_d16_b16 v139, v138, s[sgprSrdC:sgprSrdC+3], 0, offen offset:0 // load C for beta calc
_v_add_lshl_u32 v138, v3, v4, 0x1                  // scaleToBpe: accumulate d0 lower and *= bpe into Cin addr
v_cndmask_b32 v138, -1, v138, s[56:57]             // LDD clip if OOB. offset
/* (d1,vc1,d0,vc0)=(1,0,8,0) */
s_mov_b32 s52, 128                                 // coordOffset0 d0=8 vc0=0
_v_add_co_u32 v4, vcc, v0, s52                     // coord0.2: coord0 += d0*sg0*VW + vc0
v_cmp_lt_u32 s[52:53], v4, s[sgprSizeI]            // coord0 < size0
v_cmp_lt_u32 s[56:57], v1, s[sgprSizeJ]            // coord1 < size1
s_and_b64 s[56:57], s[52:53], s[56:57]             // in0 && in1
_v_add_lshl_u32 v141, v2, v4, 0x1                  // scaleToBpe: accumulate d0 lower and *= bpe into Cin addr
v_cndmask_b32 v141, -1, v141, s[56:57]             // LDC clip if OOB. offset
_buffer_load_d16_b16 v142, v141, s[sgprSrdC:sgprSrdC+3], 0, offen offset:0 // load C for beta calc
_v_add_lshl_u32 v141, v3, v4, 0x1                  // scaleToBpe: accumulate d0 lower and *= bpe into Cin addr
v_cndmask_b32 v141, -1, v141, s[56:57]             // LDD clip if OOB. offset
/* (d1,vc1,d0,vc0)=(1,1,0,0) */
_v_add_co_u32 v1, vcc, v1, 1                       // coord1.1: coord1Vgpr += d1*sg1*VW + vc1

/* Fix for UseInitialStridesCD, emitAddressSetupCode */
_v_add_u32 v2, v2, s[sgprStrideC1J]                // ROWINC- Move cinRowPtr to next row
_v_add_u32 v3, v3, s[sgprStrideD1J]                // Move coutRowPtr to next row
v_cmp_lt_u32 s[52:53], v0, s[sgprSizeI]            // coord0 < size0
v_cmp_lt_u32 s[56:57], v1, s[sgprSizeJ]            // coord1 < size1
s_and_b64 s[56:57], s[52:53], s[56:57]             // in0 && in1
_v_add_lshl_u32 v144, v2, v0, 0x1                  // scaleToBpe: accumulate d0 lower and *= bpe into Cin addr
v_cndmask_b32 v144, -1, v144, s[56:57]             // LDC clip if OOB. offset
_buffer_load_d16_b16 v145, v144, s[sgprSrdC:sgprSrdC+3], 0, offen offset:0 // load C for beta calc
_v_add_lshl_u32 v144, v3, v0, 0x1                  // scaleToBpe: accumulate d0 lower and *= bpe into Cin addr
v_cndmask_b32 v144, -1, v144, s[56:57]             // LDD clip if OOB. offset
/* (d1,vc1,d0,vc0)=(1,1,1,0) */
_v_add_co_u32 v4, vcc, v0, 16                      // coord0.1: coord0 += d0*sg0*VW + vc0
v_cmp_lt_u32 s[52:53], v4, s[sgprSizeI]            // coord0 < size0
v_cmp_lt_u32 s[56:57], v1, s[sgprSizeJ]            // coord1 < size1
s_and_b64 s[56:57], s[52:53], s[56:57]             // in0 && in1
_v_add_lshl_u32 v147, v2, v4, 0x1                  // scaleToBpe: accumulate d0 lower and *= bpe into Cin addr
v_cndmask_b32 v147, -1, v147, s[56:57]             // LDC clip if OOB. offset
_buffer_load_d16_b16 v148, v147, s[sgprSrdC:sgprSrdC+3], 0, offen offset:0 // load C for beta calc
_v_add_lshl_u32 v147, v3, v4, 0x1                  // scaleToBpe: accumulate d0 lower and *= bpe into Cin addr
v_cndmask_b32 v147, -1, v147, s[56:57]             // LDD clip if OOB. offset
/* (d1,vc1,d0,vc0)=(1,1,2,0) */
_v_add_co_u32 v4, vcc, v0, 32                      // coord0.1: coord0 += d0*sg0*VW + vc0
	;; [unrolled: 10-line block ×4, first 2 shown]
v_cmp_lt_u32 s[52:53], v4, s[sgprSizeI]            // coord0 < size0
v_cmp_lt_u32 s[56:57], v1, s[sgprSizeJ]            // coord1 < size1
s_and_b64 s[56:57], s[52:53], s[56:57]             // in0 && in1
_v_add_lshl_u32 v156, v2, v4, 0x1                  // scaleToBpe: accumulate d0 lower and *= bpe into Cin addr
v_cndmask_b32 v156, -1, v156, s[56:57]             // LDC clip if OOB. offset
_buffer_load_d16_b16 v157, v156, s[sgprSrdC:sgprSrdC+3], 0, offen offset:0 // load C for beta calc
_v_add_lshl_u32 v156, v3, v4, 0x1                  // scaleToBpe: accumulate d0 lower and *= bpe into Cin addr
v_cndmask_b32 v156, -1, v156, s[56:57]             // LDD clip if OOB. offset
/* (d1,vc1,d0,vc0)=(1,1,5,0) */
s_mov_b32 s52, 80                                  // coordOffset0 d0=5 vc0=0
_v_add_co_u32 v4, vcc, v0, s52                     // coord0.2: coord0 += d0*sg0*VW + vc0
v_cmp_lt_u32 s[52:53], v4, s[sgprSizeI]            // coord0 < size0
v_cmp_lt_u32 s[56:57], v1, s[sgprSizeJ]            // coord1 < size1
s_and_b64 s[56:57], s[52:53], s[56:57]             // in0 && in1
_v_add_lshl_u32 v159, v2, v4, 0x1                  // scaleToBpe: accumulate d0 lower and *= bpe into Cin addr
v_cndmask_b32 v159, -1, v159, s[56:57]             // LDC clip if OOB. offset
_buffer_load_d16_b16 v160, v159, s[sgprSrdC:sgprSrdC+3], 0, offen offset:0 // load C for beta calc
_v_add_lshl_u32 v159, v3, v4, 0x1                  // scaleToBpe: accumulate d0 lower and *= bpe into Cin addr
v_cndmask_b32 v159, -1, v159, s[56:57]             // LDD clip if OOB. offset
/* (d1,vc1,d0,vc0)=(1,1,6,0) */
s_mov_b32 s52, 96                                  // coordOffset0 d0=6 vc0=0
_v_add_co_u32 v4, vcc, v0, s52                     // coord0.2: coord0 += d0*sg0*VW + vc0
v_cmp_lt_u32 s[52:53], v4, s[sgprSizeI]            // coord0 < size0
v_cmp_lt_u32 s[56:57], v1, s[sgprSizeJ]            // coord1 < size1
s_and_b64 s[56:57], s[52:53], s[56:57]             // in0 && in1
_v_add_lshl_u32 v162, v2, v4, 0x1                  // scaleToBpe: accumulate d0 lower and *= bpe into Cin addr
v_cndmask_b32 v162, -1, v162, s[56:57]             // LDC clip if OOB. offset
_buffer_load_d16_b16 v163, v162, s[sgprSrdC:sgprSrdC+3], 0, offen offset:0 // load C for beta calc
_v_add_lshl_u32 v162, v3, v4, 0x1                  // scaleToBpe: accumulate d0 lower and *= bpe into Cin addr
v_cndmask_b32 v162, -1, v162, s[56:57]             // LDD clip if OOB. offset
/* (d1,vc1,d0,vc0)=(1,1,7,0) */
s_mov_b32 s52, 112                                 // coordOffset0 d0=7 vc0=0
_v_add_co_u32 v4, vcc, v0, s52                     // coord0.2: coord0 += d0*sg0*VW + vc0
v_cmp_lt_u32 s[52:53], v4, s[sgprSizeI]            // coord0 < size0
v_cmp_lt_u32 s[56:57], v1, s[sgprSizeJ]            // coord1 < size1
s_and_b64 s[56:57], s[52:53], s[56:57]             // in0 && in1
_v_add_lshl_u32 v165, v2, v4, 0x1                  // scaleToBpe: accumulate d0 lower and *= bpe into Cin addr
v_cndmask_b32 v165, -1, v165, s[56:57]             // LDC clip if OOB. offset
_buffer_load_d16_b16 v166, v165, s[sgprSrdC:sgprSrdC+3], 0, offen offset:0 // load C for beta calc
_v_add_lshl_u32 v165, v3, v4, 0x1                  // scaleToBpe: accumulate d0 lower and *= bpe into Cin addr
v_cndmask_b32 v165, -1, v165, s[56:57]             // LDD clip if OOB. offset
/* (d1,vc1,d0,vc0)=(1,1,8,0) */
s_mov_b32 s52, 128                                 // coordOffset0 d0=8 vc0=0
_v_add_co_u32 v4, vcc, v0, s52                     // coord0.2: coord0 += d0*sg0*VW + vc0
v_cmp_lt_u32 s[52:53], v4, s[sgprSizeI]            // coord0 < size0
v_cmp_lt_u32 s[56:57], v1, s[sgprSizeJ]            // coord1 < size1
s_and_b64 s[56:57], s[52:53], s[56:57]             // in0 && in1
_v_add_lshl_u32 v168, v2, v4, 0x1                  // scaleToBpe: accumulate d0 lower and *= bpe into Cin addr
v_cndmask_b32 v168, -1, v168, s[56:57]             // LDC clip if OOB. offset
_buffer_load_d16_b16 v169, v168, s[sgprSrdC:sgprSrdC+3], 0, offen offset:0 // load C for beta calc
_v_add_lshl_u32 v168, v3, v4, 0x1                  // scaleToBpe: accumulate d0 lower and *= bpe into Cin addr
v_cndmask_b32 v168, -1, v168, s[56:57]             // LDD clip if OOB. offset
/* (d1,vc1,d0,vc0)=(1,2,0,0) */
_v_add_co_u32 v1, vcc, v1, 1                       // coord1.1: coord1Vgpr += d1*sg1*VW + vc1

/* Fix for UseInitialStridesCD, emitAddressSetupCode */
_v_add_u32 v2, v2, s[sgprStrideC1J]                // ROWINC- Move cinRowPtr to next row
_v_add_u32 v3, v3, s[sgprStrideD1J]                // Move coutRowPtr to next row
v_cmp_lt_u32 s[52:53], v0, s[sgprSizeI]            // coord0 < size0
v_cmp_lt_u32 s[56:57], v1, s[sgprSizeJ]            // coord1 < size1
s_and_b64 s[56:57], s[52:53], s[56:57]             // in0 && in1
_v_add_lshl_u32 v171, v2, v0, 0x1                  // scaleToBpe: accumulate d0 lower and *= bpe into Cin addr
v_cndmask_b32 v171, -1, v171, s[56:57]             // LDC clip if OOB. offset
_buffer_load_d16_b16 v172, v171, s[sgprSrdC:sgprSrdC+3], 0, offen offset:0 // load C for beta calc
_v_add_lshl_u32 v171, v3, v0, 0x1                  // scaleToBpe: accumulate d0 lower and *= bpe into Cin addr
v_cndmask_b32 v171, -1, v171, s[56:57]             // LDD clip if OOB. offset
/* (d1,vc1,d0,vc0)=(1,2,1,0) */
_v_add_co_u32 v4, vcc, v0, 16                      // coord0.1: coord0 += d0*sg0*VW + vc0
v_cmp_lt_u32 s[52:53], v4, s[sgprSizeI]            // coord0 < size0
v_cmp_lt_u32 s[56:57], v1, s[sgprSizeJ]            // coord1 < size1
s_and_b64 s[56:57], s[52:53], s[56:57]             // in0 && in1
_v_add_lshl_u32 v174, v2, v4, 0x1                  // scaleToBpe: accumulate d0 lower and *= bpe into Cin addr
v_cndmask_b32 v174, -1, v174, s[56:57]             // LDC clip if OOB. offset
_buffer_load_d16_b16 v175, v174, s[sgprSrdC:sgprSrdC+3], 0, offen offset:0 // load C for beta calc
_v_add_lshl_u32 v174, v3, v4, 0x1                  // scaleToBpe: accumulate d0 lower and *= bpe into Cin addr
v_cndmask_b32 v174, -1, v174, s[56:57]             // LDD clip if OOB. offset
/* (d1,vc1,d0,vc0)=(1,2,2,0) */
_v_add_co_u32 v4, vcc, v0, 32                      // coord0.1: coord0 += d0*sg0*VW + vc0
	;; [unrolled: 10-line block ×4, first 2 shown]
v_cmp_lt_u32 s[52:53], v4, s[sgprSizeI]            // coord0 < size0
v_cmp_lt_u32 s[56:57], v1, s[sgprSizeJ]            // coord1 < size1
s_and_b64 s[56:57], s[52:53], s[56:57]             // in0 && in1
_v_add_lshl_u32 v183, v2, v4, 0x1                  // scaleToBpe: accumulate d0 lower and *= bpe into Cin addr
v_cndmask_b32 v183, -1, v183, s[56:57]             // LDC clip if OOB. offset
_buffer_load_d16_b16 v184, v183, s[sgprSrdC:sgprSrdC+3], 0, offen offset:0 // load C for beta calc
_v_add_lshl_u32 v183, v3, v4, 0x1                  // scaleToBpe: accumulate d0 lower and *= bpe into Cin addr
v_cndmask_b32 v183, -1, v183, s[56:57]             // LDD clip if OOB. offset
/* (d1,vc1,d0,vc0)=(1,2,5,0) */
s_mov_b32 s52, 80                                  // coordOffset0 d0=5 vc0=0
_v_add_co_u32 v4, vcc, v0, s52                     // coord0.2: coord0 += d0*sg0*VW + vc0
v_cmp_lt_u32 s[52:53], v4, s[sgprSizeI]            // coord0 < size0
v_cmp_lt_u32 s[56:57], v1, s[sgprSizeJ]            // coord1 < size1
s_and_b64 s[56:57], s[52:53], s[56:57]             // in0 && in1
_v_add_lshl_u32 v186, v2, v4, 0x1                  // scaleToBpe: accumulate d0 lower and *= bpe into Cin addr
v_cndmask_b32 v186, -1, v186, s[56:57]             // LDC clip if OOB. offset
_buffer_load_d16_b16 v187, v186, s[sgprSrdC:sgprSrdC+3], 0, offen offset:0 // load C for beta calc
_v_add_lshl_u32 v186, v3, v4, 0x1                  // scaleToBpe: accumulate d0 lower and *= bpe into Cin addr
v_cndmask_b32 v186, -1, v186, s[56:57]             // LDD clip if OOB. offset
/* (d1,vc1,d0,vc0)=(1,2,6,0) */
s_mov_b32 s52, 96                                  // coordOffset0 d0=6 vc0=0
_v_add_co_u32 v4, vcc, v0, s52                     // coord0.2: coord0 += d0*sg0*VW + vc0
v_cmp_lt_u32 s[52:53], v4, s[sgprSizeI]            // coord0 < size0
v_cmp_lt_u32 s[56:57], v1, s[sgprSizeJ]            // coord1 < size1
s_and_b64 s[56:57], s[52:53], s[56:57]             // in0 && in1
_v_add_lshl_u32 v189, v2, v4, 0x1                  // scaleToBpe: accumulate d0 lower and *= bpe into Cin addr
v_cndmask_b32 v189, -1, v189, s[56:57]             // LDC clip if OOB. offset
_buffer_load_d16_b16 v190, v189, s[sgprSrdC:sgprSrdC+3], 0, offen offset:0 // load C for beta calc
_v_add_lshl_u32 v189, v3, v4, 0x1                  // scaleToBpe: accumulate d0 lower and *= bpe into Cin addr
v_cndmask_b32 v189, -1, v189, s[56:57]             // LDD clip if OOB. offset
/* (d1,vc1,d0,vc0)=(1,2,7,0) */
s_mov_b32 s52, 112                                 // coordOffset0 d0=7 vc0=0
_v_add_co_u32 v4, vcc, v0, s52                     // coord0.2: coord0 += d0*sg0*VW + vc0
v_cmp_lt_u32 s[52:53], v4, s[sgprSizeI]            // coord0 < size0
v_cmp_lt_u32 s[56:57], v1, s[sgprSizeJ]            // coord1 < size1
s_and_b64 s[56:57], s[52:53], s[56:57]             // in0 && in1
_v_add_lshl_u32 v192, v2, v4, 0x1                  // scaleToBpe: accumulate d0 lower and *= bpe into Cin addr
v_cndmask_b32 v192, -1, v192, s[56:57]             // LDC clip if OOB. offset
_buffer_load_d16_b16 v193, v192, s[sgprSrdC:sgprSrdC+3], 0, offen offset:0 // load C for beta calc
_v_add_lshl_u32 v192, v3, v4, 0x1                  // scaleToBpe: accumulate d0 lower and *= bpe into Cin addr
v_cndmask_b32 v192, -1, v192, s[56:57]             // LDD clip if OOB. offset
/* (d1,vc1,d0,vc0)=(1,2,8,0) */
s_mov_b32 s52, 128                                 // coordOffset0 d0=8 vc0=0
_v_add_co_u32 v4, vcc, v0, s52                     // coord0.2: coord0 += d0*sg0*VW + vc0
v_cmp_lt_u32 s[52:53], v4, s[sgprSizeI]            // coord0 < size0
v_cmp_lt_u32 s[56:57], v1, s[sgprSizeJ]            // coord1 < size1
s_and_b64 s[56:57], s[52:53], s[56:57]             // in0 && in1
_v_add_lshl_u32 v195, v2, v4, 0x1                  // scaleToBpe: accumulate d0 lower and *= bpe into Cin addr
v_cndmask_b32 v195, -1, v195, s[56:57]             // LDC clip if OOB. offset
_buffer_load_d16_b16 v196, v195, s[sgprSrdC:sgprSrdC+3], 0, offen offset:0 // load C for beta calc
_v_add_lshl_u32 v195, v3, v4, 0x1                  // scaleToBpe: accumulate d0 lower and *= bpe into Cin addr
v_cndmask_b32 v195, -1, v195, s[56:57]             // LDD clip if OOB. offset
/* (d1,vc1,d0,vc0)=(1,3,0,0) */
_v_add_co_u32 v1, vcc, v1, 1                       // coord1.1: coord1Vgpr += d1*sg1*VW + vc1

/* Fix for UseInitialStridesCD, emitAddressSetupCode */
_v_add_u32 v2, v2, s[sgprStrideC1J]                // ROWINC- Move cinRowPtr to next row
_v_add_u32 v3, v3, s[sgprStrideD1J]                // Move coutRowPtr to next row
v_cmp_lt_u32 s[52:53], v0, s[sgprSizeI]            // coord0 < size0
v_cmp_lt_u32 s[56:57], v1, s[sgprSizeJ]            // coord1 < size1
s_and_b64 s[56:57], s[52:53], s[56:57]             // in0 && in1
_v_add_lshl_u32 v198, v2, v0, 0x1                  // scaleToBpe: accumulate d0 lower and *= bpe into Cin addr
v_cndmask_b32 v198, -1, v198, s[56:57]             // LDC clip if OOB. offset
_buffer_load_d16_b16 v199, v198, s[sgprSrdC:sgprSrdC+3], 0, offen offset:0 // load C for beta calc
_v_add_lshl_u32 v198, v3, v0, 0x1                  // scaleToBpe: accumulate d0 lower and *= bpe into Cin addr
v_cndmask_b32 v198, -1, v198, s[56:57]             // LDD clip if OOB. offset
/* (d1,vc1,d0,vc0)=(1,3,1,0) */
_v_add_co_u32 v4, vcc, v0, 16                      // coord0.1: coord0 += d0*sg0*VW + vc0
v_cmp_lt_u32 s[52:53], v4, s[sgprSizeI]            // coord0 < size0
v_cmp_lt_u32 s[56:57], v1, s[sgprSizeJ]            // coord1 < size1
s_and_b64 s[56:57], s[52:53], s[56:57]             // in0 && in1
_v_add_lshl_u32 v201, v2, v4, 0x1                  // scaleToBpe: accumulate d0 lower and *= bpe into Cin addr
v_cndmask_b32 v201, -1, v201, s[56:57]             // LDC clip if OOB. offset
_buffer_load_d16_b16 v202, v201, s[sgprSrdC:sgprSrdC+3], 0, offen offset:0 // load C for beta calc
_v_add_lshl_u32 v201, v3, v4, 0x1                  // scaleToBpe: accumulate d0 lower and *= bpe into Cin addr
v_cndmask_b32 v201, -1, v201, s[56:57]             // LDD clip if OOB. offset
/* (d1,vc1,d0,vc0)=(1,3,2,0) */
_v_add_co_u32 v4, vcc, v0, 32                      // coord0.1: coord0 += d0*sg0*VW + vc0
	;; [unrolled: 10-line block ×4, first 2 shown]
v_cmp_lt_u32 s[52:53], v4, s[sgprSizeI]            // coord0 < size0
v_cmp_lt_u32 s[56:57], v1, s[sgprSizeJ]            // coord1 < size1
s_and_b64 s[56:57], s[52:53], s[56:57]             // in0 && in1
_v_add_lshl_u32 v210, v2, v4, 0x1                  // scaleToBpe: accumulate d0 lower and *= bpe into Cin addr
v_cndmask_b32 v210, -1, v210, s[56:57]             // LDC clip if OOB. offset
_buffer_load_d16_b16 v211, v210, s[sgprSrdC:sgprSrdC+3], 0, offen offset:0 // load C for beta calc
_v_add_lshl_u32 v210, v3, v4, 0x1                  // scaleToBpe: accumulate d0 lower and *= bpe into Cin addr
v_cndmask_b32 v210, -1, v210, s[56:57]             // LDD clip if OOB. offset
/* (d1,vc1,d0,vc0)=(1,3,5,0) */
s_mov_b32 s52, 80                                  // coordOffset0 d0=5 vc0=0
_v_add_co_u32 v4, vcc, v0, s52                     // coord0.2: coord0 += d0*sg0*VW + vc0
v_cmp_lt_u32 s[52:53], v4, s[sgprSizeI]            // coord0 < size0
v_cmp_lt_u32 s[56:57], v1, s[sgprSizeJ]            // coord1 < size1
s_and_b64 s[56:57], s[52:53], s[56:57]             // in0 && in1
_v_add_lshl_u32 v213, v2, v4, 0x1                  // scaleToBpe: accumulate d0 lower and *= bpe into Cin addr
v_cndmask_b32 v213, -1, v213, s[56:57]             // LDC clip if OOB. offset
_buffer_load_d16_b16 v214, v213, s[sgprSrdC:sgprSrdC+3], 0, offen offset:0 // load C for beta calc
_v_add_lshl_u32 v213, v3, v4, 0x1                  // scaleToBpe: accumulate d0 lower and *= bpe into Cin addr
v_cndmask_b32 v213, -1, v213, s[56:57]             // LDD clip if OOB. offset
/* (d1,vc1,d0,vc0)=(1,3,6,0) */
s_mov_b32 s52, 96                                  // coordOffset0 d0=6 vc0=0
_v_add_co_u32 v4, vcc, v0, s52                     // coord0.2: coord0 += d0*sg0*VW + vc0
v_cmp_lt_u32 s[52:53], v4, s[sgprSizeI]            // coord0 < size0
v_cmp_lt_u32 s[56:57], v1, s[sgprSizeJ]            // coord1 < size1
s_and_b64 s[56:57], s[52:53], s[56:57]             // in0 && in1
_v_add_lshl_u32 v216, v2, v4, 0x1                  // scaleToBpe: accumulate d0 lower and *= bpe into Cin addr
v_cndmask_b32 v216, -1, v216, s[56:57]             // LDC clip if OOB. offset
_buffer_load_d16_b16 v217, v216, s[sgprSrdC:sgprSrdC+3], 0, offen offset:0 // load C for beta calc
_v_add_lshl_u32 v216, v3, v4, 0x1                  // scaleToBpe: accumulate d0 lower and *= bpe into Cin addr
v_cndmask_b32 v216, -1, v216, s[56:57]             // LDD clip if OOB. offset
/* (d1,vc1,d0,vc0)=(1,3,7,0) */
s_mov_b32 s52, 112                                 // coordOffset0 d0=7 vc0=0
_v_add_co_u32 v4, vcc, v0, s52                     // coord0.2: coord0 += d0*sg0*VW + vc0
v_cmp_lt_u32 s[52:53], v4, s[sgprSizeI]            // coord0 < size0
v_cmp_lt_u32 s[56:57], v1, s[sgprSizeJ]            // coord1 < size1
s_and_b64 s[56:57], s[52:53], s[56:57]             // in0 && in1
_v_add_lshl_u32 v219, v2, v4, 0x1                  // scaleToBpe: accumulate d0 lower and *= bpe into Cin addr
v_cndmask_b32 v219, -1, v219, s[56:57]             // LDC clip if OOB. offset
_buffer_load_d16_b16 v220, v219, s[sgprSrdC:sgprSrdC+3], 0, offen offset:0 // load C for beta calc
_v_add_lshl_u32 v219, v3, v4, 0x1                  // scaleToBpe: accumulate d0 lower and *= bpe into Cin addr
v_cndmask_b32 v219, -1, v219, s[56:57]             // LDD clip if OOB. offset
/* (d1,vc1,d0,vc0)=(1,3,8,0) */
s_mov_b32 s52, 128                                 // coordOffset0 d0=8 vc0=0
_v_add_co_u32 v4, vcc, v0, s52                     // coord0.2: coord0 += d0*sg0*VW + vc0
v_cmp_lt_u32 s[52:53], v4, s[sgprSizeI]            // coord0 < size0
v_cmp_lt_u32 s[56:57], v1, s[sgprSizeJ]            // coord1 < size1
s_and_b64 s[56:57], s[52:53], s[56:57]             // in0 && in1
_v_add_lshl_u32 v222, v2, v4, 0x1                  // scaleToBpe: accumulate d0 lower and *= bpe into Cin addr
v_cndmask_b32 v222, -1, v222, s[56:57]             // LDC clip if OOB. offset
_buffer_load_d16_b16 v223, v222, s[sgprSrdC:sgprSrdC+3], 0, offen offset:0 // load C for beta calc
_v_add_lshl_u32 v222, v3, v4, 0x1                  // scaleToBpe: accumulate d0 lower and *= bpe into Cin addr
v_cndmask_b32 v222, -1, v222, s[56:57]             // LDD clip if OOB. offset
/* (d1,vc1,d0,vc0)=(2,0,0,0) */
_v_add_co_u32 v1, vcc, v1, 61                      // coord1.1: coord1Vgpr += d1*sg1*VW + vc1

/* Fix for UseInitialStridesCD, emitAddressSetupCode */
s_mul_i32 s52, s[sgprStrideC1J], 61                // scale stride
_v_add_u32 v2, v2, s52                             // ROWINC- Move cinRowPtr to next row
s_mul_i32 s52, s[sgprStrideD1J], 61                // scale stride
_v_add_u32 v3, v3, s52                             // Move coutRowPtr to next row
v_cmp_lt_u32 s[52:53], v0, s[sgprSizeI]            // coord0 < size0
v_cmp_lt_u32 s[56:57], v1, s[sgprSizeJ]            // coord1 < size1
s_and_b64 s[56:57], s[52:53], s[56:57]             // in0 && in1
_v_add_lshl_u32 v225, v2, v0, 0x1                  // scaleToBpe: accumulate d0 lower and *= bpe into Cin addr
v_cndmask_b32 v225, -1, v225, s[56:57]             // LDC clip if OOB. offset
_buffer_load_d16_b16 v226, v225, s[sgprSrdC:sgprSrdC+3], 0, offen offset:0 // load C for beta calc
_v_add_lshl_u32 v225, v3, v0, 0x1                  // scaleToBpe: accumulate d0 lower and *= bpe into Cin addr
v_cndmask_b32 v225, -1, v225, s[56:57]             // LDD clip if OOB. offset
/* (d1,vc1,d0,vc0)=(2,0,1,0) */
_v_add_co_u32 v4, vcc, v0, 16                      // coord0.1: coord0 += d0*sg0*VW + vc0
v_cmp_lt_u32 s[52:53], v4, s[sgprSizeI]            // coord0 < size0
v_cmp_lt_u32 s[56:57], v1, s[sgprSizeJ]            // coord1 < size1
s_and_b64 s[56:57], s[52:53], s[56:57]             // in0 && in1
_v_add_lshl_u32 v228, v2, v4, 0x1                  // scaleToBpe: accumulate d0 lower and *= bpe into Cin addr
v_cndmask_b32 v228, -1, v228, s[56:57]             // LDC clip if OOB. offset
_buffer_load_d16_b16 v229, v228, s[sgprSrdC:sgprSrdC+3], 0, offen offset:0 // load C for beta calc
_v_add_lshl_u32 v228, v3, v4, 0x1                  // scaleToBpe: accumulate d0 lower and *= bpe into Cin addr
v_cndmask_b32 v228, -1, v228, s[56:57]             // LDD clip if OOB. offset
/* (d1,vc1,d0,vc0)=(2,0,2,0) */
_v_add_co_u32 v4, vcc, v0, 32                      // coord0.1: coord0 += d0*sg0*VW + vc0
	;; [unrolled: 10-line block ×4, first 2 shown]
v_cmp_lt_u32 s[52:53], v4, s[sgprSizeI]            // coord0 < size0
v_cmp_lt_u32 s[56:57], v1, s[sgprSizeJ]            // coord1 < size1
s_and_b64 s[56:57], s[52:53], s[56:57]             // in0 && in1
_v_add_lshl_u32 v237, v2, v4, 0x1                  // scaleToBpe: accumulate d0 lower and *= bpe into Cin addr
v_cndmask_b32 v237, -1, v237, s[56:57]             // LDC clip if OOB. offset
_buffer_load_d16_b16 v238, v237, s[sgprSrdC:sgprSrdC+3], 0, offen offset:0 // load C for beta calc
_v_add_lshl_u32 v237, v3, v4, 0x1                  // scaleToBpe: accumulate d0 lower and *= bpe into Cin addr
v_cndmask_b32 v237, -1, v237, s[56:57]             // LDD clip if OOB. offset
/* (d1,vc1,d0,vc0)=(2,0,5,0) */
s_mov_b32 s52, 80                                  // coordOffset0 d0=5 vc0=0
_v_add_co_u32 v4, vcc, v0, s52                     // coord0.2: coord0 += d0*sg0*VW + vc0
v_cmp_lt_u32 s[52:53], v4, s[sgprSizeI]            // coord0 < size0
v_cmp_lt_u32 s[56:57], v1, s[sgprSizeJ]            // coord1 < size1
s_and_b64 s[56:57], s[52:53], s[56:57]             // in0 && in1
_v_add_lshl_u32 v240, v2, v4, 0x1                  // scaleToBpe: accumulate d0 lower and *= bpe into Cin addr
v_cndmask_b32 v240, -1, v240, s[56:57]             // LDC clip if OOB. offset
_buffer_load_d16_b16 v241, v240, s[sgprSrdC:sgprSrdC+3], 0, offen offset:0 // load C for beta calc
_v_add_lshl_u32 v240, v3, v4, 0x1                  // scaleToBpe: accumulate d0 lower and *= bpe into Cin addr
v_cndmask_b32 v240, -1, v240, s[56:57]             // LDD clip if OOB. offset
/* (d1,vc1,d0,vc0)=(2,0,6,0) */
s_mov_b32 s52, 96                                  // coordOffset0 d0=6 vc0=0
_v_add_co_u32 v4, vcc, v0, s52                     // coord0.2: coord0 += d0*sg0*VW + vc0
v_cmp_lt_u32 s[52:53], v4, s[sgprSizeI]            // coord0 < size0
v_cmp_lt_u32 s[56:57], v1, s[sgprSizeJ]            // coord1 < size1
s_and_b64 s[56:57], s[52:53], s[56:57]             // in0 && in1
_v_add_lshl_u32 v243, v2, v4, 0x1                  // scaleToBpe: accumulate d0 lower and *= bpe into Cin addr
v_cndmask_b32 v243, -1, v243, s[56:57]             // LDC clip if OOB. offset
_buffer_load_d16_b16 v244, v243, s[sgprSrdC:sgprSrdC+3], 0, offen offset:0 // load C for beta calc
_v_add_lshl_u32 v243, v3, v4, 0x1                  // scaleToBpe: accumulate d0 lower and *= bpe into Cin addr
v_cndmask_b32 v243, -1, v243, s[56:57]             // LDD clip if OOB. offset
/* (d1,vc1,d0,vc0)=(2,0,7,0) */
s_mov_b32 s52, 112                                 // coordOffset0 d0=7 vc0=0
_v_add_co_u32 v4, vcc, v0, s52                     // coord0.2: coord0 += d0*sg0*VW + vc0
v_cmp_lt_u32 s[52:53], v4, s[sgprSizeI]            // coord0 < size0
v_cmp_lt_u32 s[56:57], v1, s[sgprSizeJ]            // coord1 < size1
s_and_b64 s[56:57], s[52:53], s[56:57]             // in0 && in1
_v_add_lshl_u32 v246, v2, v4, 0x1                  // scaleToBpe: accumulate d0 lower and *= bpe into Cin addr
v_cndmask_b32 v246, -1, v246, s[56:57]             // LDC clip if OOB. offset
_buffer_load_d16_b16 v247, v246, s[sgprSrdC:sgprSrdC+3], 0, offen offset:0 // load C for beta calc
_v_add_lshl_u32 v246, v3, v4, 0x1                  // scaleToBpe: accumulate d0 lower and *= bpe into Cin addr
v_cndmask_b32 v246, -1, v246, s[56:57]             // LDD clip if OOB. offset
/* (d1,vc1,d0,vc0)=(2,0,8,0) */
s_mov_b32 s52, 128                                 // coordOffset0 d0=8 vc0=0
_v_add_co_u32 v4, vcc, v0, s52                     // coord0.2: coord0 += d0*sg0*VW + vc0
v_cmp_lt_u32 s[52:53], v4, s[sgprSizeI]            // coord0 < size0
v_cmp_lt_u32 s[56:57], v1, s[sgprSizeJ]            // coord1 < size1
s_and_b64 s[56:57], s[52:53], s[56:57]             // in0 && in1
_v_add_lshl_u32 v249, v2, v4, 0x1                  // scaleToBpe: accumulate d0 lower and *= bpe into Cin addr
v_cndmask_b32 v249, -1, v249, s[56:57]             // LDC clip if OOB. offset
_buffer_load_d16_b16 v250, v249, s[sgprSrdC:sgprSrdC+3], 0, offen offset:0 // load C for beta calc
_v_add_lshl_u32 v249, v3, v4, 0x1                  // scaleToBpe: accumulate d0 lower and *= bpe into Cin addr
v_cndmask_b32 v249, -1, v249, s[56:57]             // LDD clip if OOB. offset
/* (d1,vc1,d0,vc0)=(2,1,0,0) */
_v_add_co_u32 v1, vcc, v1, 1                       // coord1.1: coord1Vgpr += d1*sg1*VW + vc1

/* Fix for UseInitialStridesCD, emitAddressSetupCode */
_v_add_u32 v2, v2, s[sgprStrideC1J]                // ROWINC- Move cinRowPtr to next row
_v_add_u32 v3, v3, s[sgprStrideD1J]                // Move coutRowPtr to next row
v_cmp_lt_u32 s[52:53], v0, s[sgprSizeI]            // coord0 < size0
v_cmp_lt_u32 s[56:57], v1, s[sgprSizeJ]            // coord1 < size1
s_and_b64 s[56:57], s[52:53], s[56:57]             // in0 && in1
_v_add_lshl_u32 v252, v2, v0, 0x1                  // scaleToBpe: accumulate d0 lower and *= bpe into Cin addr
v_cndmask_b32 v252, -1, v252, s[56:57]             // LDC clip if OOB. offset
_buffer_load_d16_b16 v253, v252, s[sgprSrdC:sgprSrdC+3], 0, offen offset:0 // load C for beta calc
_v_add_lshl_u32 v252, v3, v0, 0x1                  // scaleToBpe: accumulate d0 lower and *= bpe into Cin addr
v_cndmask_b32 v252, -1, v252, s[56:57]             // LDD clip if OOB. offset
v_accvgpr_read_b32 v[vgprValuC+8], acc0 // copy acc to vreg[0]
v_accvgpr_read_b32 v[vgprValuC+11], acc4 // copy acc to vreg[1]
v_accvgpr_read_b32 v[vgprValuC+14], acc8 // copy acc to vreg[2]
v_accvgpr_read_b32 v[vgprValuC+17], acc12 // copy acc to vreg[3]
v_accvgpr_read_b32 v[vgprValuC+20], acc16 // copy acc to vreg[4]
v_accvgpr_read_b32 v[vgprValuC+23], acc20 // copy acc to vreg[5]
v_accvgpr_read_b32 v[vgprValuC+26], acc24 // copy acc to vreg[6]
v_accvgpr_read_b32 v[vgprValuC+29], acc28 // copy acc to vreg[7]
v_accvgpr_read_b32 v[vgprValuC+32], acc32 // copy acc to vreg[8]
v_accvgpr_read_b32 v[vgprValuC+35], acc1 // copy acc to vreg[9]
v_accvgpr_read_b32 v[vgprValuC+38], acc5 // copy acc to vreg[10]
v_accvgpr_read_b32 v[vgprValuC+41], acc9 // copy acc to vreg[11]
v_accvgpr_read_b32 v[vgprValuC+44], acc13 // copy acc to vreg[12]
v_accvgpr_read_b32 v[vgprValuC+47], acc17 // copy acc to vreg[13]
v_accvgpr_read_b32 v[vgprValuC+50], acc21 // copy acc to vreg[14]
v_accvgpr_read_b32 v[vgprValuC+53], acc25 // copy acc to vreg[15]
v_accvgpr_read_b32 v[vgprValuC+56], acc29 // copy acc to vreg[16]
v_accvgpr_read_b32 v[vgprValuC+59], acc33 // copy acc to vreg[17]
v_accvgpr_read_b32 v[vgprValuC+62], acc2 // copy acc to vreg[18]
v_accvgpr_read_b32 v[vgprValuC+65], acc6 // copy acc to vreg[19]
v_accvgpr_read_b32 v[vgprValuC+68], acc10 // copy acc to vreg[20]
v_accvgpr_read_b32 v[vgprValuC+71], acc14 // copy acc to vreg[21]
v_accvgpr_read_b32 v[vgprValuC+74], acc18 // copy acc to vreg[22]
v_accvgpr_read_b32 v[vgprValuC+77], acc22 // copy acc to vreg[23]
v_accvgpr_read_b32 v[vgprValuC+80], acc26 // copy acc to vreg[24]
v_accvgpr_read_b32 v[vgprValuC+83], acc30 // copy acc to vreg[25]
v_accvgpr_read_b32 v[vgprValuC+86], acc34 // copy acc to vreg[26]
v_accvgpr_read_b32 v[vgprValuC+89], acc3 // copy acc to vreg[27]
v_accvgpr_read_b32 v[vgprValuC+92], acc7 // copy acc to vreg[28]
v_accvgpr_read_b32 v[vgprValuC+98], acc11 // copy acc to vreg[29]
v_accvgpr_read_b32 v[vgprValuC+101], acc15 // copy acc to vreg[30]
v_accvgpr_read_b32 v[vgprValuC+104], acc19 // copy acc to vreg[31]
v_accvgpr_read_b32 v[vgprValuC+107], acc23 // copy acc to vreg[32]
v_accvgpr_read_b32 v[vgprValuC+110], acc27 // copy acc to vreg[33]
v_accvgpr_read_b32 v[vgprValuC+113], acc31 // copy acc to vreg[34]
v_accvgpr_read_b32 v[vgprValuC+116], acc35 // copy acc to vreg[35]
v_accvgpr_read_b32 v[vgprValuC+119], acc36 // copy acc to vreg[36]
v_accvgpr_read_b32 v[vgprValuC+122], acc40 // copy acc to vreg[37]
v_accvgpr_read_b32 v[vgprValuC+125], acc44 // copy acc to vreg[38]
v_accvgpr_read_b32 v[vgprValuC+128], acc48 // copy acc to vreg[39]
v_accvgpr_read_b32 v[vgprValuC+131], acc52 // copy acc to vreg[40]
v_accvgpr_read_b32 v[vgprValuC+134], acc56 // copy acc to vreg[41]
v_accvgpr_read_b32 v[vgprValuC+137], acc60 // copy acc to vreg[42]
v_accvgpr_read_b32 v[vgprValuC+140], acc64 // copy acc to vreg[43]
v_accvgpr_read_b32 v[vgprValuC+143], acc68 // copy acc to vreg[44]
v_accvgpr_read_b32 v[vgprValuC+146], acc37 // copy acc to vreg[45]
v_accvgpr_read_b32 v[vgprValuC+149], acc41 // copy acc to vreg[46]
v_accvgpr_read_b32 v[vgprValuC+152], acc45 // copy acc to vreg[47]
v_accvgpr_read_b32 v[vgprValuC+155], acc49 // copy acc to vreg[48]
v_accvgpr_read_b32 v[vgprValuC+158], acc53 // copy acc to vreg[49]
v_accvgpr_read_b32 v[vgprValuC+161], acc57 // copy acc to vreg[50]
v_accvgpr_read_b32 v[vgprValuC+164], acc61 // copy acc to vreg[51]
v_accvgpr_read_b32 v[vgprValuC+167], acc65 // copy acc to vreg[52]
v_accvgpr_read_b32 v[vgprValuC+170], acc69 // copy acc to vreg[53]
v_accvgpr_read_b32 v[vgprValuC+173], acc38 // copy acc to vreg[54]
v_accvgpr_read_b32 v[vgprValuC+176], acc42 // copy acc to vreg[55]
v_accvgpr_read_b32 v[vgprValuC+179], acc46 // copy acc to vreg[56]
v_accvgpr_read_b32 v[vgprValuC+182], acc50 // copy acc to vreg[57]
v_accvgpr_read_b32 v[vgprValuC+185], acc54 // copy acc to vreg[58]
v_accvgpr_read_b32 v[vgprValuC+188], acc58 // copy acc to vreg[59]
v_accvgpr_read_b32 v[vgprValuC+191], acc62 // copy acc to vreg[60]
v_accvgpr_read_b32 v[vgprValuC+194], acc66 // copy acc to vreg[61]
v_accvgpr_read_b32 v[vgprValuC+197], acc70 // copy acc to vreg[62]
v_accvgpr_read_b32 v[vgprValuC+200], acc39 // copy acc to vreg[63]
v_accvgpr_read_b32 v[vgprValuC+203], acc43 // copy acc to vreg[64]
v_accvgpr_read_b32 v[vgprValuC+206], acc47 // copy acc to vreg[65]
v_accvgpr_read_b32 v[vgprValuC+209], acc51 // copy acc to vreg[66]
v_accvgpr_read_b32 v[vgprValuC+212], acc55 // copy acc to vreg[67]
v_accvgpr_read_b32 v[vgprValuC+215], acc59 // copy acc to vreg[68]
v_accvgpr_read_b32 v[vgprValuC+218], acc63 // copy acc to vreg[69]
v_accvgpr_read_b32 v[vgprValuC+221], acc67 // copy acc to vreg[70]
v_accvgpr_read_b32 v[vgprValuC+224], acc71 // copy acc to vreg[71]
v_accvgpr_read_b32 v[vgprValuC+227], acc72 // copy acc to vreg[72]
v_accvgpr_read_b32 v[vgprValuC+230], acc76 // copy acc to vreg[73]
v_accvgpr_read_b32 v[vgprValuC+233], acc80 // copy acc to vreg[74]
v_accvgpr_read_b32 v[vgprValuC+236], acc84 // copy acc to vreg[75]
v_accvgpr_read_b32 v[vgprValuC+239], acc88 // copy acc to vreg[76]
v_accvgpr_read_b32 v[vgprValuC+242], acc92 // copy acc to vreg[77]
v_accvgpr_read_b32 v[vgprValuC+245], acc96 // copy acc to vreg[78]
v_accvgpr_read_b32 v[vgprValuC+248], acc100 // copy acc to vreg[79]
v_accvgpr_read_b32 v[vgprValuC+251], acc104 // copy acc to vreg[80]
v_accvgpr_read_b32 v[vgprValuC+254], acc73 // copy acc to vreg[81]
s_nop 1                                            // 2 wait states required before reading vgpr

/* rC *= alpha batchElements=[(0, 0, 0, 0), (0, 1, 0, 0), (0, 2, 0, 0), (0, 3, 0, 0), (0, 4, 0, 0), (0, 5, 0, 0), (0, 6, 0, 0), (0, 7, 0, 0), (0, 8, 0, 0), (0, 0, 1, 0), (0, 1, 1, 0), (0, 2, 1, 0), (0, 3, 1, 0), (0, 4, 1, 0), (0, 5, 1, 0), (0, 6, 1, 0), (0, 7, 1, 0), (0, 8, 1, 0), (0, 0, 2, 0), (0, 1, 2, 0), (0, 2, 2, 0), (0, 3, 2, 0), (0, 4, 2, 0), (0, 5, 2, 0), (0, 6, 2, 0), (0, 7, 2, 0), (0, 8, 2, 0), (0, 0, 3, 0), (0, 1, 3, 0), (0, 2, 3, 0), (0, 3, 3, 0), (0, 4, 3, 0), (0, 5, 3, 0), (0, 6, 3, 0), (0, 7, 3, 0), (0, 8, 3, 0), (1, 0, 0, 0), (1, 1, 0, 0), (1, 2, 0, 0), (1, 3, 0, 0), (1, 4, 0, 0), (1, 5, 0, 0), (1, 6, 0, 0), (1, 7, 0, 0), (1, 8, 0, 0), (1, 0, 1, 0), (1, 1, 1, 0), (1, 2, 1, 0), (1, 3, 1, 0), (1, 4, 1, 0), (1, 5, 1, 0), (1, 6, 1, 0), (1, 7, 1, 0), (1, 8, 1, 0), (1, 0, 2, 0), (1, 1, 2, 0), (1, 2, 2, 0), (1, 3, 2, 0), (1, 4, 2, 0), (1, 5, 2, 0), (1, 6, 2, 0), (1, 7, 2, 0), (1, 8, 2, 0), (1, 0, 3, 0), (1, 1, 3, 0), (1, 2, 3, 0), (1, 3, 3, 0), (1, 4, 3, 0), (1, 5, 3, 0), (1, 6, 3, 0), (1, 7, 3, 0), (1, 8, 3, 0), (2, 0, 0, 0), (2, 1, 0, 0), (2, 2, 0, 0), (2, 3, 0, 0), (2, 4, 0, 0), (2, 5, 0, 0), (2, 6, 0, 0), (2, 7, 0, 0), (2, 8, 0, 0), (2, 0, 1, 0)] */
v_mul_f32 v[vgprValuC+8], s[sgprAlpha], v[vgprValuC+8] // *= alpha
v_mul_f32 v[vgprValuC+11], s[sgprAlpha], v[vgprValuC+11] // *= alpha
	;; [unrolled: 1-line block ×82, first 2 shown]
s_waitcnt vmcnt(0)                                 // wait C

/* apply mask, calc new C and issue writes */
v_fma_mix_f32 v[vgprValuC+8], s[sgprBeta], v7, v[vgprValuC+8], op_sel:[0,0,0] op_sel_hi:[0,1,0] // //C*=beta
v_cvt_f16_f32 v[vgprValuC+8], v[vgprValuC+8]       // convert C to fp16
_buffer_store_b16 v8, v6, s[sgprSrdD:sgprSrdD+3], 0, offen, offset:0 // store D
v_fma_mix_f32 v[vgprValuC+11], s[sgprBeta], v10, v[vgprValuC+11], op_sel:[0,0,0] op_sel_hi:[0,1,0] // //C*=beta
v_cvt_f16_f32 v[vgprValuC+11], v[vgprValuC+11]     // convert C to fp16
_buffer_store_b16 v11, v9, s[sgprSrdD:sgprSrdD+3], 0, offen, offset:0 // store D
v_fma_mix_f32 v[vgprValuC+14], s[sgprBeta], v13, v[vgprValuC+14], op_sel:[0,0,0] op_sel_hi:[0,1,0] // //C*=beta
v_cvt_f16_f32 v[vgprValuC+14], v[vgprValuC+14]     // convert C to fp16
_buffer_store_b16 v14, v12, s[sgprSrdD:sgprSrdD+3], 0, offen, offset:0 // store D
v_fma_mix_f32 v[vgprValuC+17], s[sgprBeta], v16, v[vgprValuC+17], op_sel:[0,0,0] op_sel_hi:[0,1,0] // //C*=beta
v_cvt_f16_f32 v[vgprValuC+17], v[vgprValuC+17]     // convert C to fp16
_buffer_store_b16 v17, v15, s[sgprSrdD:sgprSrdD+3], 0, offen, offset:0 // store D
v_fma_mix_f32 v[vgprValuC+20], s[sgprBeta], v19, v[vgprValuC+20], op_sel:[0,0,0] op_sel_hi:[0,1,0] // //C*=beta
v_cvt_f16_f32 v[vgprValuC+20], v[vgprValuC+20]     // convert C to fp16
_buffer_store_b16 v20, v18, s[sgprSrdD:sgprSrdD+3], 0, offen, offset:0 // store D
v_fma_mix_f32 v[vgprValuC+23], s[sgprBeta], v22, v[vgprValuC+23], op_sel:[0,0,0] op_sel_hi:[0,1,0] // //C*=beta
v_cvt_f16_f32 v[vgprValuC+23], v[vgprValuC+23]     // convert C to fp16
_buffer_store_b16 v23, v21, s[sgprSrdD:sgprSrdD+3], 0, offen, offset:0 // store D
v_fma_mix_f32 v[vgprValuC+26], s[sgprBeta], v25, v[vgprValuC+26], op_sel:[0,0,0] op_sel_hi:[0,1,0] // //C*=beta
v_cvt_f16_f32 v[vgprValuC+26], v[vgprValuC+26]     // convert C to fp16
_buffer_store_b16 v26, v24, s[sgprSrdD:sgprSrdD+3], 0, offen, offset:0 // store D
v_fma_mix_f32 v[vgprValuC+29], s[sgprBeta], v28, v[vgprValuC+29], op_sel:[0,0,0] op_sel_hi:[0,1,0] // //C*=beta
v_cvt_f16_f32 v[vgprValuC+29], v[vgprValuC+29]     // convert C to fp16
_buffer_store_b16 v29, v27, s[sgprSrdD:sgprSrdD+3], 0, offen, offset:0 // store D
v_fma_mix_f32 v[vgprValuC+32], s[sgprBeta], v31, v[vgprValuC+32], op_sel:[0,0,0] op_sel_hi:[0,1,0] // //C*=beta
v_cvt_f16_f32 v[vgprValuC+32], v[vgprValuC+32]     // convert C to fp16
_buffer_store_b16 v32, v30, s[sgprSrdD:sgprSrdD+3], 0, offen, offset:0 // store D
v_fma_mix_f32 v[vgprValuC+35], s[sgprBeta], v34, v[vgprValuC+35], op_sel:[0,0,0] op_sel_hi:[0,1,0] // //C*=beta
v_cvt_f16_f32 v[vgprValuC+35], v[vgprValuC+35]     // convert C to fp16
_buffer_store_b16 v35, v33, s[sgprSrdD:sgprSrdD+3], 0, offen, offset:0 // store D
v_fma_mix_f32 v[vgprValuC+38], s[sgprBeta], v37, v[vgprValuC+38], op_sel:[0,0,0] op_sel_hi:[0,1,0] // //C*=beta
v_cvt_f16_f32 v[vgprValuC+38], v[vgprValuC+38]     // convert C to fp16
_buffer_store_b16 v38, v36, s[sgprSrdD:sgprSrdD+3], 0, offen, offset:0 // store D
v_fma_mix_f32 v[vgprValuC+41], s[sgprBeta], v40, v[vgprValuC+41], op_sel:[0,0,0] op_sel_hi:[0,1,0] // //C*=beta
v_cvt_f16_f32 v[vgprValuC+41], v[vgprValuC+41]     // convert C to fp16
_buffer_store_b16 v41, v39, s[sgprSrdD:sgprSrdD+3], 0, offen, offset:0 // store D
v_fma_mix_f32 v[vgprValuC+44], s[sgprBeta], v43, v[vgprValuC+44], op_sel:[0,0,0] op_sel_hi:[0,1,0] // //C*=beta
v_cvt_f16_f32 v[vgprValuC+44], v[vgprValuC+44]     // convert C to fp16
_buffer_store_b16 v44, v42, s[sgprSrdD:sgprSrdD+3], 0, offen, offset:0 // store D
v_fma_mix_f32 v[vgprValuC+47], s[sgprBeta], v46, v[vgprValuC+47], op_sel:[0,0,0] op_sel_hi:[0,1,0] // //C*=beta
v_cvt_f16_f32 v[vgprValuC+47], v[vgprValuC+47]     // convert C to fp16
_buffer_store_b16 v47, v45, s[sgprSrdD:sgprSrdD+3], 0, offen, offset:0 // store D
v_fma_mix_f32 v[vgprValuC+50], s[sgprBeta], v49, v[vgprValuC+50], op_sel:[0,0,0] op_sel_hi:[0,1,0] // //C*=beta
v_cvt_f16_f32 v[vgprValuC+50], v[vgprValuC+50]     // convert C to fp16
_buffer_store_b16 v50, v48, s[sgprSrdD:sgprSrdD+3], 0, offen, offset:0 // store D
v_fma_mix_f32 v[vgprValuC+53], s[sgprBeta], v52, v[vgprValuC+53], op_sel:[0,0,0] op_sel_hi:[0,1,0] // //C*=beta
v_cvt_f16_f32 v[vgprValuC+53], v[vgprValuC+53]     // convert C to fp16
_buffer_store_b16 v53, v51, s[sgprSrdD:sgprSrdD+3], 0, offen, offset:0 // store D
v_fma_mix_f32 v[vgprValuC+56], s[sgprBeta], v55, v[vgprValuC+56], op_sel:[0,0,0] op_sel_hi:[0,1,0] // //C*=beta
v_cvt_f16_f32 v[vgprValuC+56], v[vgprValuC+56]     // convert C to fp16
_buffer_store_b16 v56, v54, s[sgprSrdD:sgprSrdD+3], 0, offen, offset:0 // store D
v_fma_mix_f32 v[vgprValuC+59], s[sgprBeta], v58, v[vgprValuC+59], op_sel:[0,0,0] op_sel_hi:[0,1,0] // //C*=beta
v_cvt_f16_f32 v[vgprValuC+59], v[vgprValuC+59]     // convert C to fp16
_buffer_store_b16 v59, v57, s[sgprSrdD:sgprSrdD+3], 0, offen, offset:0 // store D
v_fma_mix_f32 v[vgprValuC+62], s[sgprBeta], v61, v[vgprValuC+62], op_sel:[0,0,0] op_sel_hi:[0,1,0] // //C*=beta
v_cvt_f16_f32 v[vgprValuC+62], v[vgprValuC+62]     // convert C to fp16
_buffer_store_b16 v62, v60, s[sgprSrdD:sgprSrdD+3], 0, offen, offset:0 // store D
v_fma_mix_f32 v[vgprValuC+65], s[sgprBeta], v64, v[vgprValuC+65], op_sel:[0,0,0] op_sel_hi:[0,1,0] // //C*=beta
v_cvt_f16_f32 v[vgprValuC+65], v[vgprValuC+65]     // convert C to fp16
_buffer_store_b16 v65, v63, s[sgprSrdD:sgprSrdD+3], 0, offen, offset:0 // store D
v_fma_mix_f32 v[vgprValuC+68], s[sgprBeta], v67, v[vgprValuC+68], op_sel:[0,0,0] op_sel_hi:[0,1,0] // //C*=beta
v_cvt_f16_f32 v[vgprValuC+68], v[vgprValuC+68]     // convert C to fp16
_buffer_store_b16 v68, v66, s[sgprSrdD:sgprSrdD+3], 0, offen, offset:0 // store D
v_fma_mix_f32 v[vgprValuC+71], s[sgprBeta], v70, v[vgprValuC+71], op_sel:[0,0,0] op_sel_hi:[0,1,0] // //C*=beta
v_cvt_f16_f32 v[vgprValuC+71], v[vgprValuC+71]     // convert C to fp16
_buffer_store_b16 v71, v69, s[sgprSrdD:sgprSrdD+3], 0, offen, offset:0 // store D
v_fma_mix_f32 v[vgprValuC+74], s[sgprBeta], v73, v[vgprValuC+74], op_sel:[0,0,0] op_sel_hi:[0,1,0] // //C*=beta
v_cvt_f16_f32 v[vgprValuC+74], v[vgprValuC+74]     // convert C to fp16
_buffer_store_b16 v74, v72, s[sgprSrdD:sgprSrdD+3], 0, offen, offset:0 // store D
v_fma_mix_f32 v[vgprValuC+77], s[sgprBeta], v76, v[vgprValuC+77], op_sel:[0,0,0] op_sel_hi:[0,1,0] // //C*=beta
v_cvt_f16_f32 v[vgprValuC+77], v[vgprValuC+77]     // convert C to fp16
_buffer_store_b16 v77, v75, s[sgprSrdD:sgprSrdD+3], 0, offen, offset:0 // store D
v_fma_mix_f32 v[vgprValuC+80], s[sgprBeta], v79, v[vgprValuC+80], op_sel:[0,0,0] op_sel_hi:[0,1,0] // //C*=beta
v_cvt_f16_f32 v[vgprValuC+80], v[vgprValuC+80]     // convert C to fp16
_buffer_store_b16 v80, v78, s[sgprSrdD:sgprSrdD+3], 0, offen, offset:0 // store D
v_fma_mix_f32 v[vgprValuC+83], s[sgprBeta], v82, v[vgprValuC+83], op_sel:[0,0,0] op_sel_hi:[0,1,0] // //C*=beta
v_cvt_f16_f32 v[vgprValuC+83], v[vgprValuC+83]     // convert C to fp16
_buffer_store_b16 v83, v81, s[sgprSrdD:sgprSrdD+3], 0, offen, offset:0 // store D
v_fma_mix_f32 v[vgprValuC+86], s[sgprBeta], v85, v[vgprValuC+86], op_sel:[0,0,0] op_sel_hi:[0,1,0] // //C*=beta
v_cvt_f16_f32 v[vgprValuC+86], v[vgprValuC+86]     // convert C to fp16
_buffer_store_b16 v86, v84, s[sgprSrdD:sgprSrdD+3], 0, offen, offset:0 // store D
v_fma_mix_f32 v[vgprValuC+89], s[sgprBeta], v88, v[vgprValuC+89], op_sel:[0,0,0] op_sel_hi:[0,1,0] // //C*=beta
v_cvt_f16_f32 v[vgprValuC+89], v[vgprValuC+89]     // convert C to fp16
_buffer_store_b16 v89, v87, s[sgprSrdD:sgprSrdD+3], 0, offen, offset:0 // store D
v_fma_mix_f32 v[vgprValuC+92], s[sgprBeta], v91, v[vgprValuC+92], op_sel:[0,0,0] op_sel_hi:[0,1,0] // //C*=beta
v_cvt_f16_f32 v[vgprValuC+92], v[vgprValuC+92]     // convert C to fp16
_buffer_store_b16 v92, v90, s[sgprSrdD:sgprSrdD+3], 0, offen, offset:0 // store D
v_fma_mix_f32 v[vgprValuC+98], s[sgprBeta], v97, v[vgprValuC+98], op_sel:[0,0,0] op_sel_hi:[0,1,0] // //C*=beta
v_cvt_f16_f32 v[vgprValuC+98], v[vgprValuC+98]     // convert C to fp16
_buffer_store_b16 v98, v93, s[sgprSrdD:sgprSrdD+3], 0, offen, offset:0 // store D
v_fma_mix_f32 v[vgprValuC+101], s[sgprBeta], v100, v[vgprValuC+101], op_sel:[0,0,0] op_sel_hi:[0,1,0] // //C*=beta
v_cvt_f16_f32 v[vgprValuC+101], v[vgprValuC+101]   // convert C to fp16
_buffer_store_b16 v101, v99, s[sgprSrdD:sgprSrdD+3], 0, offen, offset:0 // store D
v_fma_mix_f32 v[vgprValuC+104], s[sgprBeta], v103, v[vgprValuC+104], op_sel:[0,0,0] op_sel_hi:[0,1,0] // //C*=beta
v_cvt_f16_f32 v[vgprValuC+104], v[vgprValuC+104]   // convert C to fp16
	;; [unrolled: 3-line block ×52, first 2 shown]
_buffer_store_b16 v254, v252, s[sgprSrdD:sgprSrdD+3], 0, offen, offset:0 // store D
s_nop 0                                            // 1 wait state required when next inst writes vgprs held by previous dwordx4 store inst
/* optSingleColVgpr=0 optSharedColVgpr=0 optSGPRUsage=BufferLoad_Edge_Mask optSrdIncForRow=0 */

/******************************************/
/* Global Write Alpha Beta Edge Batch #1 (d1,d0,vc1,vc0) = */
/*    (2,1,1,0:vw1); (2,2,1,0:vw1); (2,3,1,0:vw1); (2,4,1,0:vw1); (2,5,1,0:vw1); (2,6,1,0:vw1); (2,7,1,0:vw1); (2,8,1,0:vw1); (2,0,2,0:vw1); (2,1,2,0:vw1); (2,2,2,0:vw1); (2,3,2,0:vw1); (2,4,2,0:vw1); (2,5,2,0:vw1); (2,6,2,0:vw1); (2,7,2,0:vw1); (2,8,2,0:vw1); (2,0,3,0:vw1); (2,1,3,0:vw1); (2,2,3,0:vw1); (2,3,3,0:vw1); (2,4,3,0:vw1); (2,5,3,0:vw1); (2,6,3,0:vw1); (2,7,3,0:vw1); (2,8,3,0:vw1) */
/******************************************/

/* calc coords, apply mask, and issue loads (if necessary) */
/* (d1,vc1,d0,vc0)=(2,1,1,0) */
_v_add_co_u32 v4, vcc, v0, 16                      // coord0.1: coord0 += d0*sg0*VW + vc0
v_cmp_lt_u32 s[52:53], v4, s[sgprSizeI]            // coord0 < size0
v_cmp_lt_u32 s[56:57], v1, s[sgprSizeJ]            // coord1 < size1
s_and_b64 s[56:57], s[52:53], s[56:57]             // in0 && in1
_v_add_lshl_u32 v6, v2, v4, 0x1                    // scaleToBpe: accumulate d0 lower and *= bpe into Cin addr
v_cndmask_b32 v6, -1, v6, s[56:57]                 // LDC clip if OOB. offset
_buffer_load_d16_b16 v7, v6, s[sgprSrdC:sgprSrdC+3], 0, offen offset:0 // load C for beta calc
_v_add_lshl_u32 v6, v3, v4, 0x1                    // scaleToBpe: accumulate d0 lower and *= bpe into Cin addr
v_cndmask_b32 v6, -1, v6, s[56:57]                 // LDD clip if OOB. offset
/* (d1,vc1,d0,vc0)=(2,1,2,0) */
_v_add_co_u32 v4, vcc, v0, 32                      // coord0.1: coord0 += d0*sg0*VW + vc0
v_cmp_lt_u32 s[52:53], v4, s[sgprSizeI]            // coord0 < size0
v_cmp_lt_u32 s[56:57], v1, s[sgprSizeJ]            // coord1 < size1
s_and_b64 s[56:57], s[52:53], s[56:57]             // in0 && in1
_v_add_lshl_u32 v9, v2, v4, 0x1                    // scaleToBpe: accumulate d0 lower and *= bpe into Cin addr
v_cndmask_b32 v9, -1, v9, s[56:57]                 // LDC clip if OOB. offset
_buffer_load_d16_b16 v10, v9, s[sgprSrdC:sgprSrdC+3], 0, offen offset:0 // load C for beta calc
_v_add_lshl_u32 v9, v3, v4, 0x1                    // scaleToBpe: accumulate d0 lower and *= bpe into Cin addr
v_cndmask_b32 v9, -1, v9, s[56:57]                 // LDD clip if OOB. offset
/* (d1,vc1,d0,vc0)=(2,1,3,0) */
_v_add_co_u32 v4, vcc, v0, 48                      // coord0.1: coord0 += d0*sg0*VW + vc0
v_cmp_lt_u32 s[52:53], v4, s[sgprSizeI]            // coord0 < size0
v_cmp_lt_u32 s[56:57], v1, s[sgprSizeJ]            // coord1 < size1
s_and_b64 s[56:57], s[52:53], s[56:57]             // in0 && in1
_v_add_lshl_u32 v12, v2, v4, 0x1                   // scaleToBpe: accumulate d0 lower and *= bpe into Cin addr
v_cndmask_b32 v12, -1, v12, s[56:57]               // LDC clip if OOB. offset
_buffer_load_d16_b16 v13, v12, s[sgprSrdC:sgprSrdC+3], 0, offen offset:0 // load C for beta calc
_v_add_lshl_u32 v12, v3, v4, 0x1                   // scaleToBpe: accumulate d0 lower and *= bpe into Cin addr
v_cndmask_b32 v12, -1, v12, s[56:57]               // LDD clip if OOB. offset
/* (d1,vc1,d0,vc0)=(2,1,4,0) */
_v_add_co_u32 v4, vcc, v0, 64                      // coord0.1: coord0 += d0*sg0*VW + vc0
v_cmp_lt_u32 s[52:53], v4, s[sgprSizeI]            // coord0 < size0
v_cmp_lt_u32 s[56:57], v1, s[sgprSizeJ]            // coord1 < size1
s_and_b64 s[56:57], s[52:53], s[56:57]             // in0 && in1
_v_add_lshl_u32 v15, v2, v4, 0x1                   // scaleToBpe: accumulate d0 lower and *= bpe into Cin addr
v_cndmask_b32 v15, -1, v15, s[56:57]               // LDC clip if OOB. offset
_buffer_load_d16_b16 v16, v15, s[sgprSrdC:sgprSrdC+3], 0, offen offset:0 // load C for beta calc
_v_add_lshl_u32 v15, v3, v4, 0x1                   // scaleToBpe: accumulate d0 lower and *= bpe into Cin addr
v_cndmask_b32 v15, -1, v15, s[56:57]               // LDD clip if OOB. offset
/* (d1,vc1,d0,vc0)=(2,1,5,0) */
s_mov_b32 s52, 80                                  // coordOffset0 d0=5 vc0=0
_v_add_co_u32 v4, vcc, v0, s52                     // coord0.2: coord0 += d0*sg0*VW + vc0
v_cmp_lt_u32 s[52:53], v4, s[sgprSizeI]            // coord0 < size0
v_cmp_lt_u32 s[56:57], v1, s[sgprSizeJ]            // coord1 < size1
s_and_b64 s[56:57], s[52:53], s[56:57]             // in0 && in1
_v_add_lshl_u32 v18, v2, v4, 0x1                   // scaleToBpe: accumulate d0 lower and *= bpe into Cin addr
v_cndmask_b32 v18, -1, v18, s[56:57]               // LDC clip if OOB. offset
_buffer_load_d16_b16 v19, v18, s[sgprSrdC:sgprSrdC+3], 0, offen offset:0 // load C for beta calc
_v_add_lshl_u32 v18, v3, v4, 0x1                   // scaleToBpe: accumulate d0 lower and *= bpe into Cin addr
v_cndmask_b32 v18, -1, v18, s[56:57]               // LDD clip if OOB. offset
/* (d1,vc1,d0,vc0)=(2,1,6,0) */
s_mov_b32 s52, 96                                  // coordOffset0 d0=6 vc0=0
_v_add_co_u32 v4, vcc, v0, s52                     // coord0.2: coord0 += d0*sg0*VW + vc0
v_cmp_lt_u32 s[52:53], v4, s[sgprSizeI]            // coord0 < size0
v_cmp_lt_u32 s[56:57], v1, s[sgprSizeJ]            // coord1 < size1
s_and_b64 s[56:57], s[52:53], s[56:57]             // in0 && in1
_v_add_lshl_u32 v21, v2, v4, 0x1                   // scaleToBpe: accumulate d0 lower and *= bpe into Cin addr
v_cndmask_b32 v21, -1, v21, s[56:57]               // LDC clip if OOB. offset
_buffer_load_d16_b16 v22, v21, s[sgprSrdC:sgprSrdC+3], 0, offen offset:0 // load C for beta calc
_v_add_lshl_u32 v21, v3, v4, 0x1                   // scaleToBpe: accumulate d0 lower and *= bpe into Cin addr
v_cndmask_b32 v21, -1, v21, s[56:57]               // LDD clip if OOB. offset
/* (d1,vc1,d0,vc0)=(2,1,7,0) */
s_mov_b32 s52, 112                                 // coordOffset0 d0=7 vc0=0
_v_add_co_u32 v4, vcc, v0, s52                     // coord0.2: coord0 += d0*sg0*VW + vc0
v_cmp_lt_u32 s[52:53], v4, s[sgprSizeI]            // coord0 < size0
v_cmp_lt_u32 s[56:57], v1, s[sgprSizeJ]            // coord1 < size1
s_and_b64 s[56:57], s[52:53], s[56:57]             // in0 && in1
_v_add_lshl_u32 v24, v2, v4, 0x1                   // scaleToBpe: accumulate d0 lower and *= bpe into Cin addr
v_cndmask_b32 v24, -1, v24, s[56:57]               // LDC clip if OOB. offset
_buffer_load_d16_b16 v25, v24, s[sgprSrdC:sgprSrdC+3], 0, offen offset:0 // load C for beta calc
_v_add_lshl_u32 v24, v3, v4, 0x1                   // scaleToBpe: accumulate d0 lower and *= bpe into Cin addr
v_cndmask_b32 v24, -1, v24, s[56:57]               // LDD clip if OOB. offset
/* (d1,vc1,d0,vc0)=(2,1,8,0) */
s_mov_b32 s52, 128                                 // coordOffset0 d0=8 vc0=0
_v_add_co_u32 v4, vcc, v0, s52                     // coord0.2: coord0 += d0*sg0*VW + vc0
v_cmp_lt_u32 s[52:53], v4, s[sgprSizeI]            // coord0 < size0
v_cmp_lt_u32 s[56:57], v1, s[sgprSizeJ]            // coord1 < size1
s_and_b64 s[56:57], s[52:53], s[56:57]             // in0 && in1
_v_add_lshl_u32 v27, v2, v4, 0x1                   // scaleToBpe: accumulate d0 lower and *= bpe into Cin addr
v_cndmask_b32 v27, -1, v27, s[56:57]               // LDC clip if OOB. offset
_buffer_load_d16_b16 v28, v27, s[sgprSrdC:sgprSrdC+3], 0, offen offset:0 // load C for beta calc
_v_add_lshl_u32 v27, v3, v4, 0x1                   // scaleToBpe: accumulate d0 lower and *= bpe into Cin addr
v_cndmask_b32 v27, -1, v27, s[56:57]               // LDD clip if OOB. offset
/* (d1,vc1,d0,vc0)=(2,2,0,0) */
_v_add_co_u32 v1, vcc, v1, 1                       // coord1.1: coord1Vgpr += d1*sg1*VW + vc1

/* Fix for UseInitialStridesCD, emitAddressSetupCode */
_v_add_u32 v2, v2, s[sgprStrideC1J]                // ROWINC- Move cinRowPtr to next row
_v_add_u32 v3, v3, s[sgprStrideD1J]                // Move coutRowPtr to next row
v_cmp_lt_u32 s[52:53], v0, s[sgprSizeI]            // coord0 < size0
v_cmp_lt_u32 s[56:57], v1, s[sgprSizeJ]            // coord1 < size1
s_and_b64 s[56:57], s[52:53], s[56:57]             // in0 && in1
_v_add_lshl_u32 v30, v2, v0, 0x1                   // scaleToBpe: accumulate d0 lower and *= bpe into Cin addr
v_cndmask_b32 v30, -1, v30, s[56:57]               // LDC clip if OOB. offset
_buffer_load_d16_b16 v31, v30, s[sgprSrdC:sgprSrdC+3], 0, offen offset:0 // load C for beta calc
_v_add_lshl_u32 v30, v3, v0, 0x1                   // scaleToBpe: accumulate d0 lower and *= bpe into Cin addr
v_cndmask_b32 v30, -1, v30, s[56:57]               // LDD clip if OOB. offset
/* (d1,vc1,d0,vc0)=(2,2,1,0) */
_v_add_co_u32 v4, vcc, v0, 16                      // coord0.1: coord0 += d0*sg0*VW + vc0
v_cmp_lt_u32 s[52:53], v4, s[sgprSizeI]            // coord0 < size0
v_cmp_lt_u32 s[56:57], v1, s[sgprSizeJ]            // coord1 < size1
s_and_b64 s[56:57], s[52:53], s[56:57]             // in0 && in1
_v_add_lshl_u32 v33, v2, v4, 0x1                   // scaleToBpe: accumulate d0 lower and *= bpe into Cin addr
v_cndmask_b32 v33, -1, v33, s[56:57]               // LDC clip if OOB. offset
_buffer_load_d16_b16 v34, v33, s[sgprSrdC:sgprSrdC+3], 0, offen offset:0 // load C for beta calc
_v_add_lshl_u32 v33, v3, v4, 0x1                   // scaleToBpe: accumulate d0 lower and *= bpe into Cin addr
v_cndmask_b32 v33, -1, v33, s[56:57]               // LDD clip if OOB. offset
/* (d1,vc1,d0,vc0)=(2,2,2,0) */
_v_add_co_u32 v4, vcc, v0, 32                      // coord0.1: coord0 += d0*sg0*VW + vc0
	;; [unrolled: 10-line block ×4, first 2 shown]
v_cmp_lt_u32 s[52:53], v4, s[sgprSizeI]            // coord0 < size0
v_cmp_lt_u32 s[56:57], v1, s[sgprSizeJ]            // coord1 < size1
s_and_b64 s[56:57], s[52:53], s[56:57]             // in0 && in1
_v_add_lshl_u32 v42, v2, v4, 0x1                   // scaleToBpe: accumulate d0 lower and *= bpe into Cin addr
v_cndmask_b32 v42, -1, v42, s[56:57]               // LDC clip if OOB. offset
_buffer_load_d16_b16 v43, v42, s[sgprSrdC:sgprSrdC+3], 0, offen offset:0 // load C for beta calc
_v_add_lshl_u32 v42, v3, v4, 0x1                   // scaleToBpe: accumulate d0 lower and *= bpe into Cin addr
v_cndmask_b32 v42, -1, v42, s[56:57]               // LDD clip if OOB. offset
/* (d1,vc1,d0,vc0)=(2,2,5,0) */
s_mov_b32 s52, 80                                  // coordOffset0 d0=5 vc0=0
_v_add_co_u32 v4, vcc, v0, s52                     // coord0.2: coord0 += d0*sg0*VW + vc0
v_cmp_lt_u32 s[52:53], v4, s[sgprSizeI]            // coord0 < size0
v_cmp_lt_u32 s[56:57], v1, s[sgprSizeJ]            // coord1 < size1
s_and_b64 s[56:57], s[52:53], s[56:57]             // in0 && in1
_v_add_lshl_u32 v45, v2, v4, 0x1                   // scaleToBpe: accumulate d0 lower and *= bpe into Cin addr
v_cndmask_b32 v45, -1, v45, s[56:57]               // LDC clip if OOB. offset
_buffer_load_d16_b16 v46, v45, s[sgprSrdC:sgprSrdC+3], 0, offen offset:0 // load C for beta calc
_v_add_lshl_u32 v45, v3, v4, 0x1                   // scaleToBpe: accumulate d0 lower and *= bpe into Cin addr
v_cndmask_b32 v45, -1, v45, s[56:57]               // LDD clip if OOB. offset
/* (d1,vc1,d0,vc0)=(2,2,6,0) */
s_mov_b32 s52, 96                                  // coordOffset0 d0=6 vc0=0
_v_add_co_u32 v4, vcc, v0, s52                     // coord0.2: coord0 += d0*sg0*VW + vc0
v_cmp_lt_u32 s[52:53], v4, s[sgprSizeI]            // coord0 < size0
v_cmp_lt_u32 s[56:57], v1, s[sgprSizeJ]            // coord1 < size1
s_and_b64 s[56:57], s[52:53], s[56:57]             // in0 && in1
_v_add_lshl_u32 v48, v2, v4, 0x1                   // scaleToBpe: accumulate d0 lower and *= bpe into Cin addr
v_cndmask_b32 v48, -1, v48, s[56:57]               // LDC clip if OOB. offset
_buffer_load_d16_b16 v49, v48, s[sgprSrdC:sgprSrdC+3], 0, offen offset:0 // load C for beta calc
_v_add_lshl_u32 v48, v3, v4, 0x1                   // scaleToBpe: accumulate d0 lower and *= bpe into Cin addr
v_cndmask_b32 v48, -1, v48, s[56:57]               // LDD clip if OOB. offset
/* (d1,vc1,d0,vc0)=(2,2,7,0) */
s_mov_b32 s52, 112                                 // coordOffset0 d0=7 vc0=0
_v_add_co_u32 v4, vcc, v0, s52                     // coord0.2: coord0 += d0*sg0*VW + vc0
v_cmp_lt_u32 s[52:53], v4, s[sgprSizeI]            // coord0 < size0
v_cmp_lt_u32 s[56:57], v1, s[sgprSizeJ]            // coord1 < size1
s_and_b64 s[56:57], s[52:53], s[56:57]             // in0 && in1
_v_add_lshl_u32 v51, v2, v4, 0x1                   // scaleToBpe: accumulate d0 lower and *= bpe into Cin addr
v_cndmask_b32 v51, -1, v51, s[56:57]               // LDC clip if OOB. offset
_buffer_load_d16_b16 v52, v51, s[sgprSrdC:sgprSrdC+3], 0, offen offset:0 // load C for beta calc
_v_add_lshl_u32 v51, v3, v4, 0x1                   // scaleToBpe: accumulate d0 lower and *= bpe into Cin addr
v_cndmask_b32 v51, -1, v51, s[56:57]               // LDD clip if OOB. offset
/* (d1,vc1,d0,vc0)=(2,2,8,0) */
s_mov_b32 s52, 128                                 // coordOffset0 d0=8 vc0=0
_v_add_co_u32 v4, vcc, v0, s52                     // coord0.2: coord0 += d0*sg0*VW + vc0
v_cmp_lt_u32 s[52:53], v4, s[sgprSizeI]            // coord0 < size0
v_cmp_lt_u32 s[56:57], v1, s[sgprSizeJ]            // coord1 < size1
s_and_b64 s[56:57], s[52:53], s[56:57]             // in0 && in1
_v_add_lshl_u32 v54, v2, v4, 0x1                   // scaleToBpe: accumulate d0 lower and *= bpe into Cin addr
v_cndmask_b32 v54, -1, v54, s[56:57]               // LDC clip if OOB. offset
_buffer_load_d16_b16 v55, v54, s[sgprSrdC:sgprSrdC+3], 0, offen offset:0 // load C for beta calc
_v_add_lshl_u32 v54, v3, v4, 0x1                   // scaleToBpe: accumulate d0 lower and *= bpe into Cin addr
v_cndmask_b32 v54, -1, v54, s[56:57]               // LDD clip if OOB. offset
/* (d1,vc1,d0,vc0)=(2,3,0,0) */
_v_add_co_u32 v1, vcc, v1, 1                       // coord1.1: coord1Vgpr += d1*sg1*VW + vc1

/* Fix for UseInitialStridesCD, emitAddressSetupCode */
_v_add_u32 v2, v2, s[sgprStrideC1J]                // ROWINC- Move cinRowPtr to next row
_v_add_u32 v3, v3, s[sgprStrideD1J]                // Move coutRowPtr to next row
v_cmp_lt_u32 s[52:53], v0, s[sgprSizeI]            // coord0 < size0
v_cmp_lt_u32 s[56:57], v1, s[sgprSizeJ]            // coord1 < size1
s_and_b64 s[56:57], s[52:53], s[56:57]             // in0 && in1
_v_add_lshl_u32 v57, v2, v0, 0x1                   // scaleToBpe: accumulate d0 lower and *= bpe into Cin addr
v_cndmask_b32 v57, -1, v57, s[56:57]               // LDC clip if OOB. offset
_buffer_load_d16_b16 v58, v57, s[sgprSrdC:sgprSrdC+3], 0, offen offset:0 // load C for beta calc
_v_add_lshl_u32 v57, v3, v0, 0x1                   // scaleToBpe: accumulate d0 lower and *= bpe into Cin addr
v_cndmask_b32 v57, -1, v57, s[56:57]               // LDD clip if OOB. offset
/* (d1,vc1,d0,vc0)=(2,3,1,0) */
_v_add_co_u32 v4, vcc, v0, 16                      // coord0.1: coord0 += d0*sg0*VW + vc0
v_cmp_lt_u32 s[52:53], v4, s[sgprSizeI]            // coord0 < size0
v_cmp_lt_u32 s[56:57], v1, s[sgprSizeJ]            // coord1 < size1
s_and_b64 s[56:57], s[52:53], s[56:57]             // in0 && in1
_v_add_lshl_u32 v60, v2, v4, 0x1                   // scaleToBpe: accumulate d0 lower and *= bpe into Cin addr
v_cndmask_b32 v60, -1, v60, s[56:57]               // LDC clip if OOB. offset
_buffer_load_d16_b16 v61, v60, s[sgprSrdC:sgprSrdC+3], 0, offen offset:0 // load C for beta calc
_v_add_lshl_u32 v60, v3, v4, 0x1                   // scaleToBpe: accumulate d0 lower and *= bpe into Cin addr
v_cndmask_b32 v60, -1, v60, s[56:57]               // LDD clip if OOB. offset
/* (d1,vc1,d0,vc0)=(2,3,2,0) */
_v_add_co_u32 v4, vcc, v0, 32                      // coord0.1: coord0 += d0*sg0*VW + vc0
	;; [unrolled: 10-line block ×4, first 2 shown]
v_cmp_lt_u32 s[52:53], v4, s[sgprSizeI]            // coord0 < size0
v_cmp_lt_u32 s[56:57], v1, s[sgprSizeJ]            // coord1 < size1
s_and_b64 s[56:57], s[52:53], s[56:57]             // in0 && in1
_v_add_lshl_u32 v69, v2, v4, 0x1                   // scaleToBpe: accumulate d0 lower and *= bpe into Cin addr
v_cndmask_b32 v69, -1, v69, s[56:57]               // LDC clip if OOB. offset
_buffer_load_d16_b16 v70, v69, s[sgprSrdC:sgprSrdC+3], 0, offen offset:0 // load C for beta calc
_v_add_lshl_u32 v69, v3, v4, 0x1                   // scaleToBpe: accumulate d0 lower and *= bpe into Cin addr
v_cndmask_b32 v69, -1, v69, s[56:57]               // LDD clip if OOB. offset
/* (d1,vc1,d0,vc0)=(2,3,5,0) */
s_mov_b32 s52, 80                                  // coordOffset0 d0=5 vc0=0
_v_add_co_u32 v4, vcc, v0, s52                     // coord0.2: coord0 += d0*sg0*VW + vc0
v_cmp_lt_u32 s[52:53], v4, s[sgprSizeI]            // coord0 < size0
v_cmp_lt_u32 s[56:57], v1, s[sgprSizeJ]            // coord1 < size1
s_and_b64 s[56:57], s[52:53], s[56:57]             // in0 && in1
_v_add_lshl_u32 v72, v2, v4, 0x1                   // scaleToBpe: accumulate d0 lower and *= bpe into Cin addr
v_cndmask_b32 v72, -1, v72, s[56:57]               // LDC clip if OOB. offset
_buffer_load_d16_b16 v73, v72, s[sgprSrdC:sgprSrdC+3], 0, offen offset:0 // load C for beta calc
_v_add_lshl_u32 v72, v3, v4, 0x1                   // scaleToBpe: accumulate d0 lower and *= bpe into Cin addr
v_cndmask_b32 v72, -1, v72, s[56:57]               // LDD clip if OOB. offset
/* (d1,vc1,d0,vc0)=(2,3,6,0) */
s_mov_b32 s52, 96                                  // coordOffset0 d0=6 vc0=0
_v_add_co_u32 v4, vcc, v0, s52                     // coord0.2: coord0 += d0*sg0*VW + vc0
v_cmp_lt_u32 s[52:53], v4, s[sgprSizeI]            // coord0 < size0
v_cmp_lt_u32 s[56:57], v1, s[sgprSizeJ]            // coord1 < size1
s_and_b64 s[56:57], s[52:53], s[56:57]             // in0 && in1
_v_add_lshl_u32 v75, v2, v4, 0x1                   // scaleToBpe: accumulate d0 lower and *= bpe into Cin addr
v_cndmask_b32 v75, -1, v75, s[56:57]               // LDC clip if OOB. offset
_buffer_load_d16_b16 v76, v75, s[sgprSrdC:sgprSrdC+3], 0, offen offset:0 // load C for beta calc
_v_add_lshl_u32 v75, v3, v4, 0x1                   // scaleToBpe: accumulate d0 lower and *= bpe into Cin addr
v_cndmask_b32 v75, -1, v75, s[56:57]               // LDD clip if OOB. offset
/* (d1,vc1,d0,vc0)=(2,3,7,0) */
s_mov_b32 s52, 112                                 // coordOffset0 d0=7 vc0=0
_v_add_co_u32 v4, vcc, v0, s52                     // coord0.2: coord0 += d0*sg0*VW + vc0
v_cmp_lt_u32 s[52:53], v4, s[sgprSizeI]            // coord0 < size0
v_cmp_lt_u32 s[56:57], v1, s[sgprSizeJ]            // coord1 < size1
s_and_b64 s[56:57], s[52:53], s[56:57]             // in0 && in1
_v_add_lshl_u32 v78, v2, v4, 0x1                   // scaleToBpe: accumulate d0 lower and *= bpe into Cin addr
v_cndmask_b32 v78, -1, v78, s[56:57]               // LDC clip if OOB. offset
_buffer_load_d16_b16 v79, v78, s[sgprSrdC:sgprSrdC+3], 0, offen offset:0 // load C for beta calc
_v_add_lshl_u32 v78, v3, v4, 0x1                   // scaleToBpe: accumulate d0 lower and *= bpe into Cin addr
v_cndmask_b32 v78, -1, v78, s[56:57]               // LDD clip if OOB. offset
/* (d1,vc1,d0,vc0)=(2,3,8,0) */
s_mov_b32 s52, 128                                 // coordOffset0 d0=8 vc0=0
_v_add_co_u32 v4, vcc, v0, s52                     // coord0.2: coord0 += d0*sg0*VW + vc0
v_cmp_lt_u32 s[52:53], v4, s[sgprSizeI]            // coord0 < size0
v_cmp_lt_u32 s[56:57], v1, s[sgprSizeJ]            // coord1 < size1
s_and_b64 s[56:57], s[52:53], s[56:57]             // in0 && in1
_v_add_lshl_u32 v81, v2, v4, 0x1                   // scaleToBpe: accumulate d0 lower and *= bpe into Cin addr
v_cndmask_b32 v81, -1, v81, s[56:57]               // LDC clip if OOB. offset
_buffer_load_d16_b16 v82, v81, s[sgprSrdC:sgprSrdC+3], 0, offen offset:0 // load C for beta calc
_v_add_lshl_u32 v81, v3, v4, 0x1                   // scaleToBpe: accumulate d0 lower and *= bpe into Cin addr
v_cndmask_b32 v81, -1, v81, s[56:57]               // LDD clip if OOB. offset
v_accvgpr_read_b32 v[vgprValuC+8], acc77 // copy acc to vreg[82]
v_accvgpr_read_b32 v[vgprValuC+11], acc81 // copy acc to vreg[83]
v_accvgpr_read_b32 v[vgprValuC+14], acc85 // copy acc to vreg[84]
v_accvgpr_read_b32 v[vgprValuC+17], acc89 // copy acc to vreg[85]
v_accvgpr_read_b32 v[vgprValuC+20], acc93 // copy acc to vreg[86]
v_accvgpr_read_b32 v[vgprValuC+23], acc97 // copy acc to vreg[87]
v_accvgpr_read_b32 v[vgprValuC+26], acc101 // copy acc to vreg[88]
v_accvgpr_read_b32 v[vgprValuC+29], acc105 // copy acc to vreg[89]
v_accvgpr_read_b32 v[vgprValuC+32], acc74 // copy acc to vreg[90]
v_accvgpr_read_b32 v[vgprValuC+35], acc78 // copy acc to vreg[91]
v_accvgpr_read_b32 v[vgprValuC+38], acc82 // copy acc to vreg[92]
v_accvgpr_read_b32 v[vgprValuC+41], acc86 // copy acc to vreg[93]
v_accvgpr_read_b32 v[vgprValuC+44], acc90 // copy acc to vreg[94]
v_accvgpr_read_b32 v[vgprValuC+47], acc94 // copy acc to vreg[95]
v_accvgpr_read_b32 v[vgprValuC+50], acc98 // copy acc to vreg[96]
v_accvgpr_read_b32 v[vgprValuC+53], acc102 // copy acc to vreg[97]
v_accvgpr_read_b32 v[vgprValuC+56], acc106 // copy acc to vreg[98]
v_accvgpr_read_b32 v[vgprValuC+59], acc75 // copy acc to vreg[99]
v_accvgpr_read_b32 v[vgprValuC+62], acc79 // copy acc to vreg[100]
v_accvgpr_read_b32 v[vgprValuC+65], acc83 // copy acc to vreg[101]
v_accvgpr_read_b32 v[vgprValuC+68], acc87 // copy acc to vreg[102]
v_accvgpr_read_b32 v[vgprValuC+71], acc91 // copy acc to vreg[103]
v_accvgpr_read_b32 v[vgprValuC+74], acc95 // copy acc to vreg[104]
v_accvgpr_read_b32 v[vgprValuC+77], acc99 // copy acc to vreg[105]
v_accvgpr_read_b32 v[vgprValuC+80], acc103 // copy acc to vreg[106]
v_accvgpr_read_b32 v[vgprValuC+83], acc107 // copy acc to vreg[107]
s_nop 1                                            // 2 wait states required before reading vgpr

/* rC *= alpha batchElements=[(2, 1, 1, 0), (2, 2, 1, 0), (2, 3, 1, 0), (2, 4, 1, 0), (2, 5, 1, 0), (2, 6, 1, 0), (2, 7, 1, 0), (2, 8, 1, 0), (2, 0, 2, 0), (2, 1, 2, 0), (2, 2, 2, 0), (2, 3, 2, 0), (2, 4, 2, 0), (2, 5, 2, 0), (2, 6, 2, 0), (2, 7, 2, 0), (2, 8, 2, 0), (2, 0, 3, 0), (2, 1, 3, 0), (2, 2, 3, 0), (2, 3, 3, 0), (2, 4, 3, 0), (2, 5, 3, 0), (2, 6, 3, 0), (2, 7, 3, 0), (2, 8, 3, 0)] */
v_mul_f32 v[vgprValuC+8], s[sgprAlpha], v[vgprValuC+8] // *= alpha
v_mul_f32 v[vgprValuC+11], s[sgprAlpha], v[vgprValuC+11] // *= alpha
	;; [unrolled: 1-line block ×26, first 2 shown]
s_waitcnt vmcnt(0)                                 // wait C

/* apply mask, calc new C and issue writes */
v_fma_mix_f32 v[vgprValuC+8], s[sgprBeta], v7, v[vgprValuC+8], op_sel:[0,0,0] op_sel_hi:[0,1,0] // //C*=beta
v_cvt_f16_f32 v[vgprValuC+8], v[vgprValuC+8]       // convert C to fp16
_buffer_store_b16 v8, v6, s[sgprSrdD:sgprSrdD+3], 0, offen, offset:0 // store D
v_fma_mix_f32 v[vgprValuC+11], s[sgprBeta], v10, v[vgprValuC+11], op_sel:[0,0,0] op_sel_hi:[0,1,0] // //C*=beta
v_cvt_f16_f32 v[vgprValuC+11], v[vgprValuC+11]     // convert C to fp16
_buffer_store_b16 v11, v9, s[sgprSrdD:sgprSrdD+3], 0, offen, offset:0 // store D
v_fma_mix_f32 v[vgprValuC+14], s[sgprBeta], v13, v[vgprValuC+14], op_sel:[0,0,0] op_sel_hi:[0,1,0] // //C*=beta
v_cvt_f16_f32 v[vgprValuC+14], v[vgprValuC+14]     // convert C to fp16
	;; [unrolled: 3-line block ×25, first 2 shown]
_buffer_store_b16 v83, v81, s[sgprSrdD:sgprSrdD+3], 0, offen, offset:0 // store D
s_nop 0                                            // 1 wait state required when next inst writes vgprs held by previous dwordx4 store inst
s_branch label_GW_End_44                           // jump to end
label_GW_End_44:

label_0049:  /// KernelEnd
s_endpgm                                           // Kernel End

